;; amdgpu-corpus repo=ROCm/rocPRIM kind=compiled arch=gfx942 opt=O3
	.text
	.amdgcn_target "amdgcn-amd-amdhsa--gfx942"
	.amdhsa_code_object_version 6
	.section	.text._Z20warp_exchange_kernelILj64ELj16EN6common25StripedToBlockedShuffleOpE12hip_bfloat16EvPT2_S4_b,"axG",@progbits,_Z20warp_exchange_kernelILj64ELj16EN6common25StripedToBlockedShuffleOpE12hip_bfloat16EvPT2_S4_b,comdat
	.protected	_Z20warp_exchange_kernelILj64ELj16EN6common25StripedToBlockedShuffleOpE12hip_bfloat16EvPT2_S4_b ; -- Begin function _Z20warp_exchange_kernelILj64ELj16EN6common25StripedToBlockedShuffleOpE12hip_bfloat16EvPT2_S4_b
	.globl	_Z20warp_exchange_kernelILj64ELj16EN6common25StripedToBlockedShuffleOpE12hip_bfloat16EvPT2_S4_b
	.p2align	8
	.type	_Z20warp_exchange_kernelILj64ELj16EN6common25StripedToBlockedShuffleOpE12hip_bfloat16EvPT2_S4_b,@function
_Z20warp_exchange_kernelILj64ELj16EN6common25StripedToBlockedShuffleOpE12hip_bfloat16EvPT2_S4_b: ; @_Z20warp_exchange_kernelILj64ELj16EN6common25StripedToBlockedShuffleOpE12hip_bfloat16EvPT2_S4_b
; %bb.0:
	s_load_dwordx4 s[4:7], s[0:1], 0x0
	s_load_dword s2, s[0:1], 0x10
	v_lshlrev_b32_e32 v1, 7, v0
	v_lshlrev_b32_e32 v96, 6, v0
	s_waitcnt lgkmcnt(0)
	global_load_dwordx4 v[30:33], v1, s[4:5] offset:32
	global_load_dwordx4 v[26:29], v1, s[4:5] offset:48
	;; [unrolled: 1-line block ×6, first 2 shown]
	global_load_dwordx4 v[6:9], v1, s[4:5]
	global_load_dwordx4 v[2:5], v1, s[4:5] offset:16
	v_mbcnt_lo_u32_b32 v1, -1, 0
	s_bitcmp0_b32 s2, 0
	v_mbcnt_hi_u32_b32 v120, -1, v1
	s_waitcnt vmcnt(7)
	v_lshrrev_b32_e32 v121, 16, v30
	v_lshrrev_b32_e32 v108, 16, v31
	v_lshrrev_b32_e32 v118, 16, v32
	v_lshrrev_b32_e32 v117, 16, v33
	s_waitcnt vmcnt(6)
	v_lshrrev_b32_e32 v116, 16, v26
	v_lshrrev_b32_e32 v115, 16, v27
	v_lshrrev_b32_e32 v114, 16, v28
	v_lshrrev_b32_e32 v113, 16, v29
	;; [unrolled: 5-line block ×6, first 2 shown]
	s_cbranch_scc0 .LBB0_2
; %bb.1:
	v_and_b32_e32 v34, 0x70, v120
	v_add_u32_e32 v0, 12, v120
	v_and_or_b32 v0, v0, 15, v34
	v_lshlrev_b32_e32 v0, 2, v0
	v_and_b32_e32 v1, 0xffff, v30
	ds_bpermute_b32 v36, v0, v1
	v_and_b32_e32 v1, 0xffff, v31
	ds_bpermute_b32 v38, v0, v1
	;; [unrolled: 2-line block ×6, first 2 shown]
	v_lshlrev_b32_e32 v1, 2, v120
	v_xor_b32_e32 v1, 32, v1
	v_and_b32_e32 v43, 0xffff, v23
	ds_bpermute_b32 v51, v1, v43
	v_and_b32_e32 v43, 0xffff, v24
	ds_bpermute_b32 v53, v1, v43
	;; [unrolled: 2-line block ×5, first 2 shown]
	v_add_u32_e32 v43, 4, v120
	v_and_or_b32 v34, v43, 15, v34
	v_lshlrev_b32_e32 v34, 2, v34
	ds_bpermute_b32 v64, v34, v65
	v_and_b32_e32 v65, 0xffff, v17
	ds_bpermute_b32 v69, v34, v65
	v_and_b32_e32 v65, 0xffff, v10
	;; [unrolled: 2-line block ×3, first 2 shown]
	ds_bpermute_b32 v37, v0, v121
	ds_bpermute_b32 v73, v34, v65
	v_bfe_u32 v65, v120, 2, 2
	ds_bpermute_b32 v39, v0, v108
	v_add_u32_e32 v67, 3, v65
	v_mov_b32_e32 v66, 0
	v_and_b32_e32 v76, 3, v67
	v_lshl_or_b32 v75, v65, 1, v66
	v_lshl_or_b32 v76, v76, 1, v66
	v_lshlrev_b32_e32 v77, 1, v67
	s_waitcnt vmcnt(1)
	scratch_store_dwordx4 off, v[6:9], off
	s_waitcnt vmcnt(1)
	scratch_store_dwordx4 off, v[2:5], off offset:16
	scratch_store_dwordx4 off, v[30:33], off offset:32
	;; [unrolled: 1-line block ×7, first 2 shown]
	v_and_b32_e32 v41, 0xffff, v22
	v_and_b32_e32 v43, 0xffff, v14
	scratch_store_short v75, v6, off
	scratch_store_short_d16_hi v75, v6, off offset:8
	scratch_store_short v75, v7, off offset:16
	scratch_store_short_d16_hi v75, v7, off offset:24
	scratch_store_short v75, v8, off offset:32
	;; [unrolled: 2-line block ×5, first 2 shown]
	s_waitcnt lgkmcnt(14)
	scratch_store_short v76, v36, off
	v_or3_b32 v36, v77, v66, 8
	ds_bpermute_b32 v41, v1, v41
	ds_bpermute_b32 v43, v34, v43
	;; [unrolled: 1-line block ×3, first 2 shown]
	s_waitcnt lgkmcnt(5)
	scratch_store_short v36, v37, off
	scratch_store_short v76, v38, off offset:16
	v_or_b32_e32 v36, 24, v77
	ds_bpermute_b32 v42, v1, v112
	ds_bpermute_b32 v62, v34, v103
	s_waitcnt lgkmcnt(5)
	scratch_store_short v36, v39, off
	scratch_store_short v76, v40, off offset:32
	v_xor_b32_e32 v36, 2, v65
	ds_bpermute_b32 v44, v0, v118
	ds_bpermute_b32 v52, v1, v111
	v_and_b32_e32 v61, 0xffff, v15
	v_lshl_or_b32 v78, v36, 1, v66
	v_add_u32_e32 v36, 3, v36
	ds_bpermute_b32 v61, v34, v61
	v_and_b32_e32 v37, 3, v36
	v_lshlrev_b32_e32 v80, 1, v36
	ds_bpermute_b32 v54, v1, v110
	v_and_b32_e32 v63, 0xffff, v16
	v_lshl_or_b32 v79, v37, 1, v66
	v_or3_b32 v36, v80, v66, 8
	ds_bpermute_b32 v46, v0, v117
	ds_bpermute_b32 v63, v34, v63
	s_waitcnt lgkmcnt(10)
	scratch_store_short v78, v41, off
	s_waitcnt lgkmcnt(7)
	scratch_store_short v78, v42, off offset:8
	scratch_store_short v79, v43, off
	scratch_store_short v36, v60, off
	v_or_b32_e32 v36, 24, v80
	ds_bpermute_b32 v48, v0, v116
	scratch_load_dwordx4 v[40:43], off, off
	v_or_b32_e32 v60, 40, v77
	scratch_store_short v78, v51, off offset:16
	s_waitcnt lgkmcnt(5)
	scratch_store_short v78, v52, off offset:24
	s_waitcnt lgkmcnt(4)
	scratch_store_short v79, v61, off offset:16
	scratch_store_short v36, v62, off
	ds_bpermute_b32 v70, v34, v102
	scratch_load_dwordx4 v[36:39], off, off offset:16
	s_nop 0
	scratch_store_short v60, v44, off
	scratch_store_short v78, v53, off offset:32
	s_waitcnt lgkmcnt(4)
	scratch_store_short v78, v54, off offset:40
	s_waitcnt lgkmcnt(2)
	scratch_store_short v79, v63, off offset:32
	v_or_b32_e32 v44, 40, v80
	ds_bpermute_b32 v50, v0, v115
	ds_bpermute_b32 v56, v1, v109
	scratch_store_short v44, v64, off
	ds_bpermute_b32 v72, v34, v101
	scratch_load_dwordx4 v[64:67], off, off offset:32
	v_or_b32_e32 v44, 56, v77
	ds_bpermute_b32 v58, v1, v97
	scratch_store_short_d16_hi v75, v3, off offset:88
	scratch_store_short v76, v45, off offset:48
	scratch_store_short v44, v46, off
	scratch_store_short v76, v47, off offset:64
	v_or_b32_e32 v44, 0x48, v77
	s_waitcnt lgkmcnt(5)
	scratch_store_short v44, v48, off
	scratch_store_short v78, v55, off offset:48
	s_waitcnt lgkmcnt(2)
	scratch_store_short v78, v56, off offset:56
	scratch_store_short v79, v69, off offset:48
	v_or_b32_e32 v44, 56, v80
	scratch_store_short v44, v70, off
	v_or_b32_e32 v44, 0x58, v77
	scratch_load_dwordx4 v[60:63], off, off offset:48
	ds_bpermute_b32 v68, v1, v107
	scratch_store_short v76, v49, off offset:80
	scratch_store_short v44, v50, off
	scratch_store_short v78, v57, off offset:64
	s_waitcnt lgkmcnt(1)
	scratch_store_short v78, v58, off offset:72
	scratch_store_short v79, v71, off offset:64
	v_or_b32_e32 v44, 0x48, v80
	scratch_store_short v44, v72, off
	scratch_load_dwordx4 v[44:47], off, off offset:64
	ds_bpermute_b32 v74, v34, v100
	ds_bpermute_b32 v52, v0, v114
	v_and_b32_e32 v53, 0xffff, v29
	ds_bpermute_b32 v53, v0, v53
	ds_bpermute_b32 v54, v0, v113
	v_and_b32_e32 v55, 0xffff, v20
	v_and_b32_e32 v35, 0xffff, v28
	scratch_store_short v78, v59, off offset:80
	s_waitcnt lgkmcnt(4)
	scratch_store_short v78, v68, off offset:88
	scratch_store_short v79, v73, off offset:80
	v_or_b32_e32 v48, 0x58, v80
	ds_bpermute_b32 v55, v1, v55
	ds_bpermute_b32 v68, v34, v99
	v_and_b32_e32 v69, 0xffff, v13
	s_waitcnt lgkmcnt(5)
	scratch_store_short v48, v74, off
	ds_bpermute_b32 v35, v0, v35
	ds_bpermute_b32 v56, v1, v106
	v_and_b32_e32 v57, 0xffff, v21
	ds_bpermute_b32 v69, v34, v69
	ds_bpermute_b32 v70, v34, v98
	scratch_load_dwordx4 v[48:51], off, off offset:80
	ds_bpermute_b32 v57, v1, v57
	scratch_store_short v75, v4, off offset:96
	scratch_store_short_d16_hi v75, v4, off offset:104
	scratch_store_short v75, v5, off offset:112
	scratch_store_short_d16_hi v75, v5, off offset:120
	s_waitcnt lgkmcnt(4)
	scratch_store_short v76, v35, off offset:96
	v_or_b32_e32 v35, 0x68, v77
	ds_bpermute_b32 v58, v1, v105
	v_and_b32_e32 v59, 0xffff, v12
	scratch_store_short v35, v52, off
	scratch_store_short v76, v53, off offset:112
	v_or_b32_e32 v35, 0x78, v77
	ds_bpermute_b32 v59, v34, v59
	scratch_store_short v35, v54, off
	scratch_store_short v78, v55, off offset:96
	s_waitcnt lgkmcnt(5)
	scratch_store_short v78, v56, off offset:104
	s_waitcnt lgkmcnt(2)
	;; [unrolled: 2-line block ×4, first 2 shown]
	scratch_store_short v79, v59, off offset:96
	v_or_b32_e32 v35, 0x68, v80
	scratch_store_short v35, v68, off
	scratch_store_short v79, v69, off offset:112
	v_or_b32_e32 v35, 0x78, v80
	scratch_store_short v35, v70, off
	scratch_load_dwordx4 v[52:55], off, off offset:96
	scratch_load_dwordx4 v[56:59], off, off offset:112
	s_mov_b32 s0, 0x5040100
	v_and_b32_e32 v95, 3, v120
	v_mov_b32_e32 v122, 0x80
	v_lshl_or_b32 v123, v95, 1, v122
	v_mov_b32_e32 v113, v114
	v_mov_b32_e32 v114, v106
	;; [unrolled: 1-line block ×13, first 2 shown]
	s_waitcnt vmcnt(51)
	v_lshrrev_b32_e32 v68, 16, v41
	v_and_b32_e32 v77, 0xffff, v41
	v_lshrrev_b32_e32 v69, 16, v43
	v_and_b32_e32 v76, 0xffff, v43
	v_lshrrev_b32_e32 v75, 16, v40
	s_waitcnt vmcnt(46)
	v_lshrrev_b32_e32 v35, 16, v38
	ds_bpermute_b32 v41, v34, v35
	v_and_b32_e32 v35, 0xffff, v39
	v_lshrrev_b32_e32 v43, 16, v39
	ds_bpermute_b32 v39, v1, v35
	ds_bpermute_b32 v43, v0, v43
	v_lshrrev_b32_e32 v74, 16, v42
	s_waitcnt vmcnt(40)
	v_lshrrev_b32_e32 v35, 16, v64
	ds_bpermute_b32 v73, v34, v35
	v_and_b32_e32 v35, 0xffff, v65
	v_lshrrev_b32_e32 v70, 16, v65
	ds_bpermute_b32 v65, v1, v35
	ds_bpermute_b32 v70, v0, v70
	v_and_b32_e32 v35, 0xffff, v67
	ds_bpermute_b32 v79, v1, v35
	v_lshrrev_b32_e32 v71, 16, v66
	v_lshrrev_b32_e32 v72, 16, v67
	s_waitcnt vmcnt(30)
	v_lshrrev_b32_e32 v35, 16, v60
	ds_bpermute_b32 v81, v34, v35
	v_and_b32_e32 v35, 0xffff, v61
	ds_bpermute_b32 v78, v34, v71
	v_lshrrev_b32_e32 v67, 16, v61
	ds_bpermute_b32 v61, v1, v35
	s_waitcnt vmcnt(23)
	v_lshrrev_b32_e32 v87, 16, v45
	v_and_b32_e32 v90, 0xffff, v45
	s_waitcnt lgkmcnt(6)
	v_and_b32_e32 v45, 0xffff, v73
	ds_bpermute_b32 v80, v0, v72
	ds_bpermute_b32 v84, v0, v67
	v_mov_b32_dpp v73, v45 quad_perm:[3,0,1,2] row_mask:0xf bank_mask:0xf
	s_waitcnt lgkmcnt(7)
	v_and_b32_e32 v45, 0xffff, v65
	v_and_b32_e32 v35, 0xffff, v64
	v_perm_b32 v64, v39, v41, s0
	v_mov_b32_dpp v71, v45 quad_perm:[3,0,1,2] row_mask:0xf bank_mask:0xf
	s_waitcnt lgkmcnt(6)
	v_and_b32_e32 v45, 0xffff, v70
	v_mov_b32_dpp v35, v35 quad_perm:[3,0,1,2] row_mask:0xf bank_mask:0xf
	v_perm_b32 v65, v35, v43, s0
	v_mov_b32_dpp v72, v45 quad_perm:[3,0,1,2] row_mask:0xf bank_mask:0xf
	v_and_b32_e32 v45, 0xffff, v66
	v_perm_b32 v66, v71, v73, s0
	v_and_b32_e32 v60, 0xffff, v60
	v_mov_b32_dpp v45, v45 quad_perm:[3,0,1,2] row_mask:0xf bank_mask:0xf
	v_perm_b32 v67, v45, v72, s0
	scratch_store_dwordx4 off, v[64:67], off offset:26
	ds_bpermute_b32 v75, v34, v75
	ds_bpermute_b32 v77, v1, v77
	v_mov_b32_dpp v64, v60 quad_perm:[3,0,1,2] row_mask:0xf bank_mask:0xf
	s_waitcnt lgkmcnt(6)
	v_and_b32_e32 v60, 0xffff, v81
	v_lshrrev_b32_e32 v89, 16, v47
	v_and_b32_e32 v91, 0xffff, v47
	v_mov_b32_dpp v65, v60 quad_perm:[3,0,1,2] row_mask:0xf bank_mask:0xf
	s_waitcnt lgkmcnt(4)
	v_and_b32_e32 v60, 0xffff, v61
	v_and_b32_e32 v47, 0xffff, v78
	ds_bpermute_b32 v74, v34, v74
	v_mov_b32_dpp v61, v60 quad_perm:[3,0,1,2] row_mask:0xf bank_mask:0xf
	s_waitcnt lgkmcnt(3)
	v_and_b32_e32 v60, 0xffff, v84
	ds_bpermute_b32 v125, v1, v76
	v_lshrrev_b32_e32 v83, 16, v63
	v_and_b32_e32 v85, 0xffff, v63
	s_waitcnt vmcnt(19)
	v_lshrrev_b32_e32 v93, 16, v49
	v_and_b32_e32 v67, 0xffff, v49
	v_mov_b32_dpp v70, v47 quad_perm:[3,0,1,2] row_mask:0xf bank_mask:0xf
	v_and_b32_e32 v47, 0xffff, v79
	v_and_b32_e32 v49, 0xffff, v80
	v_mov_b32_dpp v63, v60 quad_perm:[3,0,1,2] row_mask:0xf bank_mask:0xf
	v_and_b32_e32 v60, 0xffff, v62
	v_mov_b32_dpp v47, v47 quad_perm:[3,0,1,2] row_mask:0xf bank_mask:0xf
	v_mov_b32_dpp v49, v49 quad_perm:[3,0,1,2] row_mask:0xf bank_mask:0xf
	;; [unrolled: 1-line block ×3, first 2 shown]
	v_perm_b32 v80, v61, v65, s0
	v_perm_b32 v78, v47, v70, s0
	;; [unrolled: 1-line block ×4, first 2 shown]
	scratch_store_dwordx4 off, v[78:81], off offset:42
	s_waitcnt vmcnt(2)
	v_and_b32_e32 v124, 0xffff, v58
	scratch_store_short v123, v40, off
	scratch_store_short v123, v42, off offset:32
	v_lshrrev_b32_e32 v81, 16, v58
	s_waitcnt lgkmcnt(2)
	v_perm_b32 v58, v77, v75, s0
	scratch_store_dword off, v58, off offset:2
	s_waitcnt lgkmcnt(0)
	v_perm_b32 v58, v125, v74, s0
	scratch_store_dword off, v58, off offset:10
	v_lshrrev_b32_e32 v58, 16, v36
	ds_bpermute_b32 v126, v34, v58
	v_and_b32_e32 v58, 0xffff, v37
	ds_bpermute_b32 v127, v1, v58
	v_lshrrev_b32_e32 v82, 16, v62
	v_lshrrev_b32_e32 v86, 16, v44
	;; [unrolled: 1-line block ×4, first 2 shown]
	s_waitcnt lgkmcnt(0)
	v_perm_b32 v58, v127, v126, s0
	v_lshrrev_b32_e32 v94, 16, v50
	v_lshrrev_b32_e32 v62, 16, v54
	scratch_store_dword off, v58, off offset:18
	ds_bpermute_b32 v58, v34, v82
	v_lshrrev_b32_e32 v66, 16, v51
	v_and_b32_e32 v51, 0xffff, v51
	v_lshrrev_b32_e32 v40, 16, v52
	v_lshrrev_b32_e32 v42, 16, v53
	;; [unrolled: 1-line block ×3, first 2 shown]
	v_and_b32_e32 v53, 0xffff, v53
	v_and_b32_e32 v55, 0xffff, v55
	v_lshrrev_b32_e32 v79, 16, v56
	v_lshrrev_b32_e32 v80, 16, v57
	v_lshrrev_b32_e32 v84, 16, v59
	v_and_b32_e32 v57, 0xffff, v57
	v_and_b32_e32 v59, 0xffff, v59
	ds_bpermute_b32 v82, v34, v86
	ds_bpermute_b32 v86, v34, v88
	;; [unrolled: 1-line block ×7, first 2 shown]
	scratch_store_dword off, v96, off offset:256 ; 4-byte Folded Spill
	ds_bpermute_b32 v96, v34, v79
	ds_bpermute_b32 v34, v34, v81
	;; [unrolled: 1-line block ×13, first 2 shown]
	v_lshrrev_b32_e32 v37, 16, v37
	ds_bpermute_b32 v37, v0, v37
	ds_bpermute_b32 v68, v0, v87
	;; [unrolled: 1-line block ×9, first 2 shown]
	s_waitcnt lgkmcnt(14)
	v_and_b32_e32 v0, 0xffff, v58
	v_and_b32_e32 v48, 0xffff, v48
	s_waitcnt lgkmcnt(11)
	scratch_store_short off, v1, off offset:6
	s_waitcnt lgkmcnt(9)
	scratch_store_short off, v98, off offset:14
	;; [unrolled: 2-line block ×3, first 2 shown]
	v_mov_b32_dpp v58, v0 quad_perm:[3,0,1,2] row_mask:0xf bank_mask:0xf
	v_and_b32_e32 v0, 0xffff, v62
	scratch_store_short v123, v75, off offset:8
	scratch_store_short v123, v77, off offset:16
	;; [unrolled: 1-line block ×4, first 2 shown]
	v_mov_b32_dpp v62, v0 quad_perm:[3,0,1,2] row_mask:0xf bank_mask:0xf
	v_and_b32_e32 v0, 0xffff, v67
	v_mov_b32_dpp v75, v48 quad_perm:[2,3,0,1] row_mask:0xf bank_mask:0xf
	v_and_b32_e32 v48, 0xffff, v88
	v_and_b32_e32 v40, 0xffff, v40
	v_mov_b32_dpp v76, v0 quad_perm:[3,0,1,2] row_mask:0xf bank_mask:0xf
	v_and_b32_e32 v0, 0xffff, v82
	v_mov_b32_dpp v77, v48 quad_perm:[2,3,0,1] row_mask:0xf bank_mask:0xf
	;; [unrolled: 2-line block ×5, first 2 shown]
	s_waitcnt lgkmcnt(6)
	v_and_b32_e32 v48, 0xffff, v87
	v_mov_b32_dpp v87, v40 quad_perm:[1,2,3,0] row_mask:0xf bank_mask:0xf
	s_waitcnt lgkmcnt(5)
	v_and_b32_e32 v40, 0xffff, v42
	v_mov_b32_dpp v102, v0 quad_perm:[2,3,0,1] row_mask:0xf bank_mask:0xf
	v_and_b32_e32 v0, 0xffff, v68
	v_mov_b32_dpp v88, v40 quad_perm:[1,2,3,0] row_mask:0xf bank_mask:0xf
	v_and_b32_e32 v40, 0xffff, v94
	v_mov_b32_e32 v111, v103
	v_mov_b32_dpp v103, v0 quad_perm:[2,3,0,1] row_mask:0xf bank_mask:0xf
	v_and_b32_e32 v0, 0xffff, v86
	v_mov_b32_dpp v86, v40 quad_perm:[1,2,3,0] row_mask:0xf bank_mask:0xf
	v_and_b32_e32 v40, 0xffff, v55
	v_and_b32_e32 v34, 0xffff, v34
	v_mov_b32_e32 v108, v112
	v_mov_b32_dpp v90, v40 quad_perm:[1,2,3,0] row_mask:0xf bank_mask:0xf
	s_waitcnt lgkmcnt(2)
	v_and_b32_e32 v40, 0xffff, v91
	v_mov_b32_e32 v112, v104
	v_and_b32_e32 v44, 0xffff, v44
	v_mov_b32_dpp v91, v40 quad_perm:[1,2,3,0] row_mask:0xf bank_mask:0xf
	v_and_b32_e32 v40, 0xffff, v96
	scratch_store_short v123, v125, off offset:48
	scratch_store_short v123, v98, off offset:56
	;; [unrolled: 1-line block ×6, first 2 shown]
	v_mov_b32_dpp v93, v40 quad_perm:[1,2,3,0] row_mask:0xf bank_mask:0xf
	v_and_b32_e32 v40, 0xffff, v57
	v_mov_b32_dpp v44, v44 quad_perm:[2,3,0,1] row_mask:0xf bank_mask:0xf
	v_and_b32_e32 v52, 0xffff, v52
	v_mov_b32_dpp v94, v40 quad_perm:[1,2,3,0] row_mask:0xf bank_mask:0xf
	s_waitcnt lgkmcnt(1)
	v_and_b32_e32 v40, 0xffff, v99
	v_mov_b32_dpp v99, v124 quad_perm:[1,2,3,0] row_mask:0xf bank_mask:0xf
	v_mov_b32_dpp v124, v34 quad_perm:[1,2,3,0] row_mask:0xf bank_mask:0xf
	v_and_b32_e32 v34, 0xffff, v59
	v_perm_b32 v68, v102, v101, s0
	v_mov_b32_dpp v84, v52 quad_perm:[1,2,3,0] row_mask:0xf bank_mask:0xf
	v_mov_b32_dpp v104, v34 quad_perm:[1,2,3,0] row_mask:0xf bank_mask:0xf
	s_waitcnt lgkmcnt(0)
	v_and_b32_e32 v34, 0xffff, v100
	v_and_b32_e32 v46, 0xffff, v46
	v_mov_b32_dpp v80, v48 quad_perm:[2,3,0,1] row_mask:0xf bank_mask:0xf
	v_mov_b32_dpp v100, v34 quad_perm:[1,2,3,0] row_mask:0xf bank_mask:0xf
	v_add_u32_e32 v34, -1, v120
	v_and_b32_e32 v34, 3, v34
	v_lshl_or_b32 v98, v34, 1, v122
	v_xor_b32_e32 v34, 2, v95
	scratch_store_short v98, v35, off
	scratch_store_short v98, v73, off offset:8
	v_lshl_or_b32 v73, v34, 1, v122
	v_add_u32_e32 v34, 3, v34
	scratch_store_short v73, v44, off
	scratch_store_short v73, v101, off offset:8
	v_and_b32_e32 v35, 3, v34
	v_lshlrev_b32_e32 v101, 1, v34
	v_lshl_or_b32 v95, v35, 1, v122
	v_or3_b32 v34, v101, v122, 8
	scratch_store_short v95, v84, off
	scratch_store_short v34, v85, off
	v_and_b32_e32 v48, 0xffff, v92
	scratch_load_dwordx4 v[34:37], off, off offset:128
	s_nop 0
	scratch_store_short v123, v38, off offset:96
	scratch_store_short v123, v41, off offset:104
	;; [unrolled: 1-line block ×7, first 2 shown]
	v_or_b32_e32 v38, 24, v101
	v_and_b32_e32 v54, 0xffff, v54
	v_mov_b32_dpp v46, v46 quad_perm:[2,3,0,1] row_mask:0xf bank_mask:0xf
	v_mov_b32_dpp v78, v48 quad_perm:[2,3,0,1] row_mask:0xf bank_mask:0xf
	v_and_b32_e32 v48, 0xffff, v51
	scratch_store_short v73, v103, off offset:24
	scratch_store_short v95, v87, off offset:16
	;; [unrolled: 1-line block ×3, first 2 shown]
	v_or_b32_e32 v42, 40, v101
	v_and_b32_e32 v50, 0xffff, v50
	v_perm_b32 v69, v46, v103, s0
	v_mov_b32_dpp v0, v0 quad_perm:[2,3,0,1] row_mask:0xf bank_mask:0xf
	v_and_b32_e32 v1, 0xffff, v81
	v_and_b32_e32 v74, 0xffff, v83
	v_mov_b32_dpp v82, v48 quad_perm:[2,3,0,1] row_mask:0xf bank_mask:0xf
	v_and_b32_e32 v48, 0xffff, v89
	v_mov_b32_dpp v89, v54 quad_perm:[1,2,3,0] row_mask:0xf bank_mask:0xf
	v_mov_b32_dpp v96, v40 quad_perm:[1,2,3,0] row_mask:0xf bank_mask:0xf
	scratch_load_dwordx4 v[38:41], off, off offset:144
	s_nop 0
	scratch_store_short v98, v45, off offset:32
	scratch_store_short v98, v70, off offset:40
	;; [unrolled: 1-line block ×6, first 2 shown]
	v_or_b32_e32 v46, 56, v101
	v_and_b32_e32 v56, 0xffff, v56
	v_perm_b32 v67, v44, v76, s0
	v_mov_b32_dpp v1, v1 quad_perm:[2,3,0,1] row_mask:0xf bank_mask:0xf
	v_mov_b32_dpp v74, v74 quad_perm:[2,3,0,1] row_mask:0xf bank_mask:0xf
	;; [unrolled: 1-line block ×3, first 2 shown]
	scratch_load_dwordx4 v[42:45], off, off offset:160
	s_nop 0
	scratch_store_short v98, v47, off offset:48
	scratch_store_short v98, v49, off offset:56
	scratch_store_short v73, v1, off offset:48
	scratch_store_short v73, v74, off offset:56
	scratch_store_short v95, v90, off offset:48
	scratch_store_short v46, v91, off offset:128
	v_or_b32_e32 v50, 0x48, v101
	v_mov_b32_dpp v83, v48 quad_perm:[2,3,0,1] row_mask:0xf bank_mask:0xf
	v_mov_b32_dpp v92, v56 quad_perm:[1,2,3,0] row_mask:0xf bank_mask:0xf
	scratch_load_dwordx4 v[46:49], off, off offset:176
	s_nop 0
	scratch_store_short v98, v64, off offset:64
	scratch_store_short v98, v65, off offset:72
	;; [unrolled: 1-line block ×6, first 2 shown]
	v_or_b32_e32 v54, 0x58, v101
	scratch_load_dwordx4 v[50:53], off, off offset:192
	s_nop 0
	scratch_store_short v98, v61, off offset:80
	scratch_store_short v98, v63, off offset:88
	;; [unrolled: 1-line block ×6, first 2 shown]
	v_perm_b32 v66, v62, v58, s0
	scratch_load_dwordx4 v[54:57], off, off offset:208
	s_nop 0
	scratch_store_short v98, v60, off offset:96
	scratch_store_short v98, v58, off offset:104
	;; [unrolled: 1-line block ×5, first 2 shown]
	v_or_b32_e32 v58, 0x68, v101
	scratch_store_short v58, v124, off offset:128
	scratch_load_dwordx4 v[58:61], off, off offset:224
	s_nop 0
	scratch_store_short v98, v62, off offset:112
	scratch_store_short v98, v76, off offset:120
	v_or_b32_e32 v62, 0x78, v101
	scratch_store_short v73, v82, off offset:112
	scratch_store_short v73, v83, off offset:120
	;; [unrolled: 1-line block ×4, first 2 shown]
	scratch_load_dwordx4 v[62:65], off, off offset:240
	v_mov_b32_e32 v102, v110
	scratch_store_dwordx4 off, v[66:69], off offset:58
	v_mov_b32_e32 v110, v118
	v_mov_b32_e32 v118, v97
	v_perm_b32 v68, v79, v77, s0
	v_perm_b32 v66, v1, v0, s0
	;; [unrolled: 1-line block ×4, first 2 shown]
	scratch_store_dwordx4 off, v[66:69], off offset:74
	v_perm_b32 v0, v104, v124, s0
	scratch_store_dword off, v0, off offset:122
	v_perm_b32 v68, v87, v85, s0
	v_perm_b32 v66, v82, v78, s0
	;; [unrolled: 1-line block ×4, first 2 shown]
	scratch_store_dwordx4 off, v[66:69], off offset:90
	v_mov_b32_e32 v103, v111
	v_mov_b32_e32 v111, v119
	v_perm_b32 v69, v99, v96, s0
	scratch_load_dword v96, off, off offset:256 ; 4-byte Folded Reload
	v_perm_b32 v68, v94, v93, s0
	v_perm_b32 v66, v90, v86, s0
	;; [unrolled: 1-line block ×3, first 2 shown]
	scratch_store_dwordx4 off, v[66:69], off offset:106
	v_mov_b32_e32 v98, v106
	v_mov_b32_e32 v106, v114
	;; [unrolled: 1-line block ×3, first 2 shown]
	s_waitcnt vmcnt(59)
	v_lshrrev_b32_e32 v66, 16, v35
	v_lshrrev_b32_e32 v67, 16, v36
	;; [unrolled: 1-line block ×3, first 2 shown]
	v_and_b32_e32 v37, 0xffff, v37
	v_lshrrev_b32_e32 v0, 16, v34
	v_and_b32_e32 v1, 0xffff, v35
	v_mov_b32_dpp v35, v66 quad_perm:[3,0,1,2] row_mask:0xf bank_mask:0xf
	v_mov_b32_dpp v66, v67 quad_perm:[1,2,3,0] row_mask:0xf bank_mask:0xf
	;; [unrolled: 1-line block ×4, first 2 shown]
	v_mov_b32_e32 v101, v109
	v_mov_b32_e32 v109, v117
	;; [unrolled: 1-line block ×6, first 2 shown]
	v_lshrrev_b32_e32 v105, 16, v21
	v_lshrrev_b32_e32 v113, 16, v29
	v_mov_b32_e32 v104, v112
	v_mov_b32_e32 v112, v108
	s_waitcnt vmcnt(48)
	v_and_b32_e32 v71, 0xffff, v41
	v_lshrrev_b32_e32 v41, 16, v41
	v_lshrrev_b32_e32 v68, 16, v38
	;; [unrolled: 1-line block ×3, first 2 shown]
	v_mov_b32_dpp v122, v41 quad_perm:[3,0,1,2] row_mask:0xf bank_mask:0xf
	v_and_b32_e32 v69, 0xffff, v39
	v_lshrrev_b32_e32 v39, 16, v39
	scratch_store_short off, v100, off offset:126
	v_lshrrev_b32_e32 v100, 16, v11
	s_waitcnt vmcnt(42)
	v_and_b32_e32 v73, 0xffff, v43
	v_lshrrev_b32_e32 v41, 16, v43
	v_lshrrev_b32_e32 v43, 16, v45
	v_and_b32_e32 v75, 0xffff, v45
	v_lshrrev_b32_e32 v72, 16, v42
	v_mov_b32_dpp v45, v43 quad_perm:[3,0,1,2] row_mask:0xf bank_mask:0xf
	s_waitcnt vmcnt(35)
	v_and_b32_e32 v77, 0xffff, v47
	v_lshrrev_b32_e32 v43, 16, v47
	v_lshrrev_b32_e32 v47, 16, v49
	v_and_b32_e32 v79, 0xffff, v49
	s_waitcnt vmcnt(28)
	v_and_b32_e32 v81, 0xffff, v51
	v_mov_b32_dpp v49, v47 quad_perm:[3,0,1,2] row_mask:0xf bank_mask:0xf
	v_lshrrev_b32_e32 v47, 16, v51
	v_lshrrev_b32_e32 v51, 16, v53
	v_and_b32_e32 v83, 0xffff, v53
	s_waitcnt vmcnt(21)
	v_and_b32_e32 v85, 0xffff, v55
	v_mov_b32_dpp v53, v51 quad_perm:[3,0,1,2] row_mask:0xf bank_mask:0xf
	v_lshrrev_b32_e32 v51, 16, v55
	v_lshrrev_b32_e32 v55, 16, v57
	v_and_b32_e32 v87, 0xffff, v57
	s_waitcnt vmcnt(14)
	v_and_b32_e32 v89, 0xffff, v59
	v_mov_b32_dpp v57, v55 quad_perm:[3,0,1,2] row_mask:0xf bank_mask:0xf
	v_lshrrev_b32_e32 v55, 16, v59
	v_lshrrev_b32_e32 v59, 16, v61
	;; [unrolled: 1-line block ×11, first 2 shown]
	v_and_b32_e32 v91, 0xffff, v61
	s_waitcnt vmcnt(7)
	v_lshrrev_b32_e32 v92, 16, v62
	v_lshrrev_b32_e32 v94, 16, v64
	v_and_b32_e32 v93, 0xffff, v63
	v_and_b32_e32 v95, 0xffff, v65
	v_mov_b32_dpp v61, v59 quad_perm:[3,0,1,2] row_mask:0xf bank_mask:0xf
	v_lshrrev_b32_e32 v59, 16, v63
	v_lshrrev_b32_e32 v63, 16, v65
	;; [unrolled: 1-line block ×5, first 2 shown]
	v_mov_b32_dpp v0, v0 quad_perm:[1,2,3,0] row_mask:0xf bank_mask:0xf
	v_mov_b32_dpp v1, v1 quad_perm:[2,3,0,1] row_mask:0xf bank_mask:0xf
	;; [unrolled: 1-line block ×37, first 2 shown]
	v_lshrrev_b32_e32 v65, 16, v16
	v_mov_b32_dpp v63, v63 quad_perm:[3,0,1,2] row_mask:0xf bank_mask:0xf
	s_cbranch_execz .LBB0_3
	s_branch .LBB0_4
.LBB0_2:
                                        ; implicit-def: $vgpr63
                                        ; implicit-def: $vgpr64
                                        ; implicit-def: $vgpr59
                                        ; implicit-def: $vgpr61
                                        ; implicit-def: $vgpr60
                                        ; implicit-def: $vgpr55
                                        ; implicit-def: $vgpr57
                                        ; implicit-def: $vgpr56
                                        ; implicit-def: $vgpr51
                                        ; implicit-def: $vgpr53
                                        ; implicit-def: $vgpr47
                                        ; implicit-def: $vgpr49
                                        ; implicit-def: $vgpr43
                                        ; implicit-def: $vgpr45
                                        ; implicit-def: $vgpr41
                                        ; implicit-def: $vgpr122
                                        ; implicit-def: $vgpr39
                                        ; implicit-def: $vgpr37
                                        ; implicit-def: $vgpr35
                                        ; implicit-def: $vgpr94_vgpr95
                                        ; implicit-def: $vgpr92_vgpr93
                                        ; implicit-def: $vgpr90_vgpr91
                                        ; implicit-def: $vgpr88_vgpr89
                                        ; implicit-def: $vgpr86_vgpr87
                                        ; implicit-def: $vgpr84_vgpr85
                                        ; implicit-def: $vgpr82_vgpr83
                                        ; implicit-def: $vgpr80_vgpr81
                                        ; implicit-def: $vgpr78_vgpr79
                                        ; implicit-def: $vgpr76_vgpr77
                                        ; implicit-def: $vgpr74_vgpr75
                                        ; implicit-def: $vgpr72_vgpr73
                                        ; implicit-def: $vgpr70_vgpr71
                                        ; implicit-def: $vgpr68_vgpr69
                                        ; implicit-def: $vgpr66_vgpr67
                                        ; implicit-def: $vgpr0_vgpr1
                                        ; implicit-def: $vgpr52
                                        ; implicit-def: $vgpr48
                                        ; implicit-def: $vgpr44
                                        ; implicit-def: $vgpr40
                                        ; implicit-def: $vgpr36
.LBB0_3:
	v_and_b32_e32 v36, 0x70, v120
	v_add_u32_e32 v0, 12, v120
	v_and_or_b32 v0, v0, 15, v36
	v_lshlrev_b32_e32 v34, 2, v0
	v_and_b32_e32 v0, 0xffff, v30
	s_waitcnt vmcnt(1)
	scratch_store_dwordx4 off, v[6:9], off
	s_waitcnt vmcnt(1)
	scratch_store_dwordx4 off, v[2:5], off offset:16
	scratch_store_dwordx4 off, v[30:33], off offset:32
	;; [unrolled: 1-line block ×7, first 2 shown]
	ds_bpermute_b32 v30, v34, v0
	v_and_b32_e32 v0, 0xffff, v31
	ds_bpermute_b32 v31, v34, v0
	v_and_b32_e32 v0, 0xffff, v32
	;; [unrolled: 2-line block ×3, first 2 shown]
	v_add_u32_e32 v33, 4, v120
	v_and_or_b32 v33, v33, 15, v36
	v_lshlrev_b32_e32 v36, 2, v33
	v_and_b32_e32 v15, 0xffff, v15
	ds_bpermute_b32 v52, v36, v15
	v_and_b32_e32 v15, 0xffff, v16
	ds_bpermute_b32 v54, v36, v15
	;; [unrolled: 2-line block ×3, first 2 shown]
	ds_bpermute_b32 v56, v36, v15
	v_bfe_u32 v15, v120, 2, 2
	v_mov_b32_e32 v16, 0
	ds_bpermute_b32 v41, v34, v0
	v_and_b32_e32 v0, 0xffff, v26
	v_lshl_or_b32 v60, v15, 1, v16
	ds_bpermute_b32 v26, v34, v0
	v_and_b32_e32 v0, 0xffff, v27
	v_lshlrev_b32_e32 v27, 2, v120
	scratch_store_short v60, v6, off
	scratch_store_short_d16_hi v60, v6, off offset:8
	v_add_u32_e32 v6, 3, v15
	v_xor_b32_e32 v35, 32, v27
	v_and_b32_e32 v22, 0xffff, v22
	v_and_b32_e32 v14, 0xffff, v14
	v_lshlrev_b32_e32 v62, 1, v6
	ds_bpermute_b32 v22, v35, v22
	ds_bpermute_b32 v14, v36, v14
	;; [unrolled: 1-line block ×3, first 2 shown]
	v_and_b32_e32 v17, 3, v6
	v_or3_b32 v6, v62, v16, 8
	ds_bpermute_b32 v27, v35, v112
	s_waitcnt lgkmcnt(7)
	scratch_store_short v6, v38, off
	v_xor_b32_e32 v6, 2, v15
	v_lshl_or_b32 v38, v6, 1, v16
	v_add_u32_e32 v6, 3, v6
	v_and_b32_e32 v15, 3, v6
	v_lshlrev_b32_e32 v64, 1, v6
	v_lshl_or_b32 v61, v17, 1, v16
	v_lshl_or_b32 v63, v15, 1, v16
	v_or3_b32 v6, v64, v16, 8
	scratch_store_short v61, v30, off
	s_waitcnt lgkmcnt(3)
	scratch_store_short v38, v22, off
	s_waitcnt lgkmcnt(0)
	scratch_store_short v38, v27, off offset:8
	scratch_store_short v63, v14, off
	scratch_store_short v6, v33, off
	scratch_load_dwordx4 v[14:17], off, off
	ds_bpermute_b32 v39, v34, v108
	v_and_b32_e32 v23, 0xffff, v23
	ds_bpermute_b32 v23, v35, v23
	ds_bpermute_b32 v53, v36, v103
	;; [unrolled: 1-line block ×3, first 2 shown]
	v_and_b32_e32 v0, 0xffff, v28
	ds_bpermute_b32 v28, v35, v111
	ds_bpermute_b32 v40, v34, v118
	v_and_b32_e32 v24, 0xffff, v24
	v_and_b32_e32 v6, 0xffff, v13
	ds_bpermute_b32 v24, v35, v24
	ds_bpermute_b32 v55, v36, v65
	;; [unrolled: 1-line block ×3, first 2 shown]
	v_or_b32_e32 v6, 24, v62
	ds_bpermute_b32 v42, v34, v117
	ds_bpermute_b32 v46, v34, v0
	v_and_b32_e32 v0, 0xffff, v29
	ds_bpermute_b32 v29, v35, v110
	scratch_store_short v60, v7, off offset:16
	scratch_store_short_d16_hi v60, v7, off offset:24
	scratch_store_short v60, v8, off offset:32
	scratch_store_short_d16_hi v60, v8, off offset:40
	;; [unrolled: 2-line block ×3, first 2 shown]
	scratch_store_short v60, v2, off offset:64
	scratch_store_short v61, v31, off offset:16
	s_waitcnt lgkmcnt(11)
	scratch_store_short v6, v39, off
	s_waitcnt lgkmcnt(10)
	scratch_store_short v38, v23, off offset:16
	s_waitcnt lgkmcnt(7)
	scratch_store_short v38, v28, off offset:24
	scratch_store_short v63, v52, off offset:16
	v_or_b32_e32 v6, 24, v64
	ds_bpermute_b32 v43, v34, v116
	v_and_b32_e32 v25, 0xffff, v25
	scratch_store_short v6, v53, off
	ds_bpermute_b32 v25, v35, v25
	ds_bpermute_b32 v57, v36, v102
	scratch_load_dwordx4 v[6:9], off, off offset:16
	s_nop 0
	scratch_store_short_d16_hi v60, v2, off offset:72
	scratch_store_short v60, v3, off offset:80
	scratch_store_short_d16_hi v60, v3, off offset:88
	scratch_store_short v60, v4, off offset:96
	;; [unrolled: 2-line block ×4, first 2 shown]
	v_or_b32_e32 v2, 40, v62
	ds_bpermute_b32 v45, v34, v115
	ds_bpermute_b32 v48, v35, v109
	s_waitcnt lgkmcnt(11)
	scratch_store_short v2, v40, off
	s_waitcnt lgkmcnt(10)
	scratch_store_short v38, v24, off offset:32
	s_waitcnt lgkmcnt(5)
	scratch_store_short v38, v29, off offset:40
	scratch_store_short v63, v54, off offset:32
	v_or_b32_e32 v2, 40, v64
	ds_bpermute_b32 v47, v34, v114
	v_and_b32_e32 v18, 0xffff, v18
	scratch_store_short v2, v55, off
	v_or_b32_e32 v2, 56, v62
	ds_bpermute_b32 v1, v34, v0
	ds_bpermute_b32 v18, v35, v18
	ds_bpermute_b32 v58, v36, v101
	scratch_load_dwordx4 v[30:33], off, off offset:32
	ds_bpermute_b32 v0, v34, v113
	scratch_store_short v61, v41, off offset:48
	scratch_store_short v2, v42, off
	scratch_store_short v61, v26, off offset:64
	v_or_b32_e32 v2, 0x48, v62
	ds_bpermute_b32 v49, v35, v97
	v_and_b32_e32 v19, 0xffff, v19
	v_and_b32_e32 v10, 0xffff, v10
	s_waitcnt lgkmcnt(10)
	scratch_store_short v2, v43, off
	s_waitcnt lgkmcnt(9)
	scratch_store_short v38, v25, off offset:48
	s_waitcnt lgkmcnt(6)
	scratch_store_short v38, v48, off offset:56
	scratch_store_short v63, v56, off offset:48
	v_or_b32_e32 v2, 56, v64
	ds_bpermute_b32 v19, v35, v19
	ds_bpermute_b32 v10, v36, v10
	;; [unrolled: 1-line block ×3, first 2 shown]
	scratch_store_short v2, v57, off
	v_or_b32_e32 v2, 0x58, v62
	ds_bpermute_b32 v50, v35, v107
	v_and_b32_e32 v20, 0xffff, v20
	ds_bpermute_b32 v37, v35, v105
	v_and_b32_e32 v12, 0xffff, v12
	ds_bpermute_b32 v65, v36, v99
	scratch_load_dwordx4 v[26:29], off, off offset:48
	ds_bpermute_b32 v20, v35, v20
	scratch_store_short v61, v44, off offset:80
	scratch_store_short v2, v45, off
	scratch_store_short v61, v46, off offset:96
	v_or_b32_e32 v2, 0x68, v62
	ds_bpermute_b32 v12, v36, v12
	ds_bpermute_b32 v66, v36, v98
	s_waitcnt lgkmcnt(14)
	scratch_store_short v2, v47, off
	s_waitcnt lgkmcnt(12)
	scratch_store_short v38, v18, off offset:64
	s_waitcnt lgkmcnt(9)
	scratch_store_short v38, v49, off offset:72
	;; [unrolled: 2-line block ×3, first 2 shown]
	v_or_b32_e32 v2, 0x48, v64
	ds_bpermute_b32 v51, v35, v106
	v_and_b32_e32 v21, 0xffff, v21
	v_and_b32_e32 v11, 0xffff, v11
	scratch_store_short v2, v58, off
	scratch_store_short v61, v1, off offset:112
	v_or_b32_e32 v1, 0x78, v62
	ds_bpermute_b32 v21, v35, v21
	ds_bpermute_b32 v11, v36, v11
	scratch_load_dwordx4 v[22:25], off, off offset:64
	s_nop 0
	scratch_store_short v1, v0, off
	scratch_store_short v38, v19, off offset:80
	s_waitcnt lgkmcnt(8)
	scratch_store_short v38, v50, off offset:88
	s_waitcnt lgkmcnt(5)
	;; [unrolled: 2-line block ×5, first 2 shown]
	scratch_store_short v63, v11, off offset:80
	v_or_b32_e32 v0, 0x58, v64
	scratch_store_short v0, v59, off
	v_or_b32_e32 v0, 0x68, v64
	scratch_load_dwordx4 v[18:21], off, off offset:80
	s_nop 0
	scratch_store_short v38, v37, off offset:120
	scratch_store_short v63, v12, off offset:96
	scratch_store_short v0, v65, off
	scratch_store_short v63, v13, off offset:112
	v_or_b32_e32 v0, 0x78, v64
	scratch_store_short v0, v66, off
	s_waitcnt vmcnt(61)
	v_lshrrev_b32_e32 v0, 16, v14
	ds_bpermute_b32 v37, v36, v0
	v_and_b32_e32 v0, 0xffff, v15
	ds_bpermute_b32 v38, v35, v0
	v_lshrrev_b32_e32 v0, 16, v16
	v_lshrrev_b32_e32 v1, 16, v15
	scratch_load_dwordx4 v[10:13], off, off offset:96
	v_lshrrev_b32_e32 v2, 16, v17
	ds_bpermute_b32 v42, v36, v0
	v_and_b32_e32 v0, 0xffff, v17
	ds_bpermute_b32 v39, v34, v1
	ds_bpermute_b32 v46, v35, v0
	;; [unrolled: 1-line block ×3, first 2 shown]
	scratch_load_dwordx4 v[0:3], off, off offset:112
	s_mov_b32 s0, 0x5040100
	s_waitcnt lgkmcnt(4)
	v_perm_b32 v4, v38, v37, s0
	scratch_store_dword off, v4, off offset:2
	s_waitcnt lgkmcnt(1)
	v_perm_b32 v4, v46, v42, s0
	scratch_store_short off, v39, off offset:6
	s_waitcnt vmcnt(51)
	v_lshrrev_b32_e32 v5, 16, v6
	ds_bpermute_b32 v50, v36, v5
	v_and_b32_e32 v5, 0xffff, v7
	v_lshrrev_b32_e32 v17, 16, v7
	ds_bpermute_b32 v15, v35, v5
	ds_bpermute_b32 v17, v34, v17
	s_waitcnt lgkmcnt(3)
	scratch_store_short off, v47, off offset:14
	scratch_store_dword off, v4, off offset:10
	v_lshrrev_b32_e32 v7, 16, v9
	s_waitcnt lgkmcnt(1)
	v_perm_b32 v5, v15, v50, s0
	s_waitcnt lgkmcnt(0)
	scratch_store_short off, v17, off offset:22
	scratch_store_dword off, v5, off offset:18
	v_and_b32_e32 v5, 0xffff, v9
	v_lshrrev_b32_e32 v4, 16, v8
	ds_bpermute_b32 v4, v36, v4
	s_waitcnt vmcnt(41)
	v_lshrrev_b32_e32 v40, 16, v31
	v_and_b32_e32 v31, 0xffff, v31
	v_lshrrev_b32_e32 v43, 16, v33
	ds_bpermute_b32 v44, v35, v31
	v_and_b32_e32 v31, 0xffff, v33
	v_lshrrev_b32_e32 v9, 16, v30
	ds_bpermute_b32 v9, v36, v9
	ds_bpermute_b32 v40, v34, v40
	;; [unrolled: 1-line block ×3, first 2 shown]
	v_lshrrev_b32_e32 v41, 16, v32
	ds_bpermute_b32 v41, v36, v41
	ds_bpermute_b32 v43, v34, v43
	ds_bpermute_b32 v5, v35, v5
	ds_bpermute_b32 v7, v34, v7
	s_waitcnt vmcnt(32)
	v_lshrrev_b32_e32 v33, 16, v27
	v_and_b32_e32 v27, 0xffff, v27
	v_lshrrev_b32_e32 v49, 16, v29
	ds_bpermute_b32 v52, v35, v27
	v_and_b32_e32 v27, 0xffff, v29
	ds_bpermute_b32 v53, v34, v33
	v_lshrrev_b32_e32 v31, 16, v26
	ds_bpermute_b32 v51, v36, v31
	ds_bpermute_b32 v54, v35, v27
	v_lshrrev_b32_e32 v48, 16, v28
	ds_bpermute_b32 v48, v36, v48
	ds_bpermute_b32 v49, v34, v49
	s_waitcnt vmcnt(22)
	v_lshrrev_b32_e32 v29, 16, v23
	v_and_b32_e32 v23, 0xffff, v23
	v_lshrrev_b32_e32 v33, 16, v25
	ds_bpermute_b32 v56, v35, v23
	v_and_b32_e32 v23, 0xffff, v25
	s_waitcnt vmcnt(13)
	v_lshrrev_b32_e32 v25, 16, v19
	v_and_b32_e32 v19, 0xffff, v19
	ds_bpermute_b32 v57, v34, v29
	v_lshrrev_b32_e32 v29, 16, v21
	ds_bpermute_b32 v62, v35, v19
	v_and_b32_e32 v19, 0xffff, v21
	ds_bpermute_b32 v63, v34, v25
	v_lshrrev_b32_e32 v27, 16, v22
	v_lshrrev_b32_e32 v31, 16, v24
	ds_bpermute_b32 v59, v35, v23
	v_lshrrev_b32_e32 v23, 16, v18
	s_waitcnt vmcnt(7)
	v_lshrrev_b32_e32 v21, 16, v11
	v_and_b32_e32 v11, 0xffff, v11
	v_lshrrev_b32_e32 v25, 16, v13
	ds_bpermute_b32 v68, v35, v11
	v_and_b32_e32 v11, 0xffff, v13
	ds_bpermute_b32 v65, v35, v19
	v_lshrrev_b32_e32 v19, 16, v10
	s_waitcnt vmcnt(6)
	v_lshrrev_b32_e32 v13, 16, v1
	v_and_b32_e32 v1, 0xffff, v1
	ds_bpermute_b32 v74, v35, v1
	v_and_b32_e32 v1, 0xffff, v3
	ds_bpermute_b32 v55, v36, v27
	ds_bpermute_b32 v58, v36, v31
	v_lshrrev_b32_e32 v27, 16, v20
	ds_bpermute_b32 v61, v36, v23
	v_lshrrev_b32_e32 v23, 16, v12
	ds_bpermute_b32 v67, v36, v19
	ds_bpermute_b32 v71, v35, v11
	v_lshrrev_b32_e32 v11, 16, v0
	v_lshrrev_b32_e32 v19, 16, v2
	ds_bpermute_b32 v31, v35, v1
	v_and_b32_e32 v1, 0xffff, v30
	ds_bpermute_b32 v64, v36, v27
	ds_bpermute_b32 v70, v36, v23
	;; [unrolled: 1-line block ×4, first 2 shown]
	v_mov_b32_dpp v36, v1 quad_perm:[3,0,1,2] row_mask:0xf bank_mask:0xf
	s_waitcnt lgkmcnt(14)
	v_and_b32_e32 v1, 0xffff, v9
	ds_bpermute_b32 v66, v34, v29
	ds_bpermute_b32 v69, v34, v21
	v_mov_b32_dpp v77, v1 quad_perm:[3,0,1,2] row_mask:0xf bank_mask:0xf
	v_and_b32_e32 v1, 0xffff, v44
	v_lshrrev_b32_e32 v21, 16, v3
	ds_bpermute_b32 v72, v34, v25
	v_mov_b32_dpp v44, v1 quad_perm:[3,0,1,2] row_mask:0xf bank_mask:0xf
	v_and_b32_e32 v1, 0xffff, v40
	ds_bpermute_b32 v25, v34, v21
	v_and_b32_e32 v22, 0xffff, v22
	v_mov_b32_dpp v40, v1 quad_perm:[3,0,1,2] row_mask:0xf bank_mask:0xf
	v_and_b32_e32 v1, 0xffff, v32
	ds_bpermute_b32 v75, v34, v13
	ds_bpermute_b32 v60, v34, v33
	v_mov_b32_dpp v30, v1 quad_perm:[3,0,1,2] row_mask:0xf bank_mask:0xf
	v_and_b32_e32 v1, 0xffff, v41
	v_mov_b32_dpp v41, v22 quad_perm:[2,3,0,1] row_mask:0xf bank_mask:0xf
	s_waitcnt lgkmcnt(14)
	v_and_b32_e32 v22, 0xffff, v55
	v_mov_b32_dpp v78, v1 quad_perm:[3,0,1,2] row_mask:0xf bank_mask:0xf
	v_and_b32_e32 v1, 0xffff, v45
	v_and_b32_e32 v18, 0xffff, v18
	v_perm_b32 v32, v5, v4, s0
	v_mov_b32_dpp v27, v1 quad_perm:[3,0,1,2] row_mask:0xf bank_mask:0xf
	v_and_b32_e32 v1, 0xffff, v43
	v_mov_b32_dpp v43, v22 quad_perm:[2,3,0,1] row_mask:0xf bank_mask:0xf
	v_and_b32_e32 v22, 0xffff, v56
	;; [unrolled: 2-line block ×5, first 2 shown]
	v_perm_b32 v34, v44, v77, s0
	v_perm_b32 v33, v36, v7, s0
	v_mov_b32_dpp v23, v1 quad_perm:[3,0,1,2] row_mask:0xf bank_mask:0xf
	v_and_b32_e32 v1, 0xffff, v52
	v_perm_b32 v35, v30, v40, s0
	scratch_store_dwordx4 off, v[32:35], off offset:26
	v_mov_b32_dpp v13, v1 quad_perm:[3,0,1,2] row_mask:0xf bank_mask:0xf
	v_and_b32_e32 v1, 0xffff, v53
	v_perm_b32 v34, v13, v23, s0
	v_perm_b32 v32, v27, v78, s0
	v_mov_b32_dpp v19, v1 quad_perm:[3,0,1,2] row_mask:0xf bank_mask:0xf
	v_and_b32_e32 v1, 0xffff, v28
	v_perm_b32 v33, v21, v29, s0
	v_and_b32_e32 v10, 0xffff, v10
	v_mov_b32_dpp v3, v1 quad_perm:[3,0,1,2] row_mask:0xf bank_mask:0xf
	v_and_b32_e32 v1, 0xffff, v48
	v_mov_b32_dpp v48, v22 quad_perm:[2,3,0,1] row_mask:0xf bank_mask:0xf
	;; [unrolled: 2-line block ×3, first 2 shown]
	v_and_b32_e32 v1, 0xffff, v54
	v_perm_b32 v35, v3, v19, s0
	scratch_store_dwordx4 off, v[32:35], off offset:42
	v_mov_b32_dpp v11, v1 quad_perm:[3,0,1,2] row_mask:0xf bank_mask:0xf
	v_and_b32_e32 v1, 0xffff, v49
	v_mov_b32_dpp v49, v22 quad_perm:[2,3,0,1] row_mask:0xf bank_mask:0xf
	v_and_b32_e32 v22, 0xffff, v58
	v_mov_b32_dpp v58, v18 quad_perm:[2,3,0,1] row_mask:0xf bank_mask:0xf
	s_waitcnt lgkmcnt(13)
	v_and_b32_e32 v18, 0xffff, v61
	v_mov_b32_dpp v51, v22 quad_perm:[2,3,0,1] row_mask:0xf bank_mask:0xf
	v_and_b32_e32 v22, 0xffff, v59
	v_mov_b32_dpp v59, v18 quad_perm:[2,3,0,1] row_mask:0xf bank_mask:0xf
	;; [unrolled: 2-line block ×3, first 2 shown]
	v_mov_b32_dpp v56, v22 quad_perm:[2,3,0,1] row_mask:0xf bank_mask:0xf
	v_mov_b32_dpp v26, v18 quad_perm:[2,3,0,1] row_mask:0xf bank_mask:0xf
	v_and_b32_e32 v18, 0xffff, v63
	s_waitcnt lgkmcnt(0)
	v_and_b32_e32 v22, 0xffff, v60
	v_perm_b32 v34, v45, v43, s0
	v_mov_b32_dpp v28, v18 quad_perm:[2,3,0,1] row_mask:0xf bank_mask:0xf
	v_and_b32_e32 v18, 0xffff, v20
	v_perm_b32 v32, v11, v9, s0
	v_perm_b32 v35, v49, v48, s0
	;; [unrolled: 1-line block ×3, first 2 shown]
	v_mov_b32_dpp v57, v22 quad_perm:[2,3,0,1] row_mask:0xf bank_mask:0xf
	v_mov_b32_dpp v22, v18 quad_perm:[2,3,0,1] row_mask:0xf bank_mask:0xf
	scratch_store_dwordx4 off, v[32:35], off offset:58
	v_and_b32_e32 v18, 0xffff, v64
	v_and_b32_e32 v20, 0xffff, v66
	v_perm_b32 v34, v26, v59, s0
	v_perm_b32 v32, v56, v51, s0
	;; [unrolled: 1-line block ×4, first 2 shown]
	scratch_store_dwordx4 off, v[32:35], off offset:74
	v_mov_b32_dpp v24, v18 quad_perm:[2,3,0,1] row_mask:0xf bank_mask:0xf
	v_and_b32_e32 v18, 0xffff, v65
	v_and_b32_e32 v32, 0xffff, v67
	;; [unrolled: 1-line block ×3, first 2 shown]
	v_mov_b32_dpp v18, v18 quad_perm:[2,3,0,1] row_mask:0xf bank_mask:0xf
	v_mov_b32_dpp v60, v32 quad_perm:[1,2,3,0] row_mask:0xf bank_mask:0xf
	v_and_b32_e32 v32, 0xffff, v68
	v_mov_b32_dpp v20, v20 quad_perm:[2,3,0,1] row_mask:0xf bank_mask:0xf
	v_mov_b32_dpp v10, v10 quad_perm:[1,2,3,0] row_mask:0xf bank_mask:0xf
	;; [unrolled: 1-line block ×3, first 2 shown]
	v_and_b32_e32 v32, 0xffff, v69
	v_mov_b32_dpp v12, v12 quad_perm:[1,2,3,0] row_mask:0xf bank_mask:0xf
	v_perm_b32 v34, v61, v60, s0
	v_mov_b32_dpp v62, v32 quad_perm:[1,2,3,0] row_mask:0xf bank_mask:0xf
	v_perm_b32 v32, v18, v24, s0
	v_perm_b32 v35, v12, v62, s0
	;; [unrolled: 1-line block ×3, first 2 shown]
	scratch_store_dwordx4 off, v[32:35], off offset:90
	v_and_b32_e32 v0, 0xffff, v0
	v_and_b32_e32 v2, 0xffff, v2
	;; [unrolled: 1-line block ×3, first 2 shown]
	v_mov_b32_e32 v35, 0x80
	v_and_b32_e32 v32, 0xffff, v70
	v_mov_b32_dpp v63, v34 quad_perm:[1,2,3,0] row_mask:0xf bank_mask:0xf
	v_and_b32_e32 v34, 0xffff, v73
	v_and_b32_e32 v33, 0xffff, v71
	v_mov_b32_dpp v32, v32 quad_perm:[1,2,3,0] row_mask:0xf bank_mask:0xf
	v_mov_b32_dpp v64, v34 quad_perm:[1,2,3,0] row_mask:0xf bank_mask:0xf
	v_and_b32_e32 v34, 0xffff, v74
	v_mov_b32_dpp v33, v33 quad_perm:[1,2,3,0] row_mask:0xf bank_mask:0xf
	v_mov_b32_dpp v0, v0 quad_perm:[1,2,3,0] row_mask:0xf bank_mask:0xf
	;; [unrolled: 1-line block ×3, first 2 shown]
	v_and_b32_e32 v34, 0xffff, v75
	v_mov_b32_dpp v2, v2 quad_perm:[1,2,3,0] row_mask:0xf bank_mask:0xf
	v_perm_b32 v54, v65, v64, s0
	v_mov_b32_dpp v66, v34 quad_perm:[1,2,3,0] row_mask:0xf bank_mask:0xf
	v_and_b32_e32 v34, 3, v120
	v_lshl_or_b32 v67, v34, 1, v35
	scratch_store_short v67, v14, off
	scratch_store_short v67, v37, off offset:8
	v_add_u32_e32 v14, -1, v120
	v_and_b32_e32 v14, 3, v14
	v_xor_b32_e32 v34, 2, v34
	v_lshl_or_b32 v14, v14, 1, v35
	v_lshl_or_b32 v68, v34, 1, v35
	v_add_u32_e32 v34, 3, v34
	scratch_store_short v14, v36, off
	scratch_store_short v14, v77, off offset:8
	v_and_b32_e32 v36, 3, v34
	v_lshl_or_b32 v69, v36, 1, v35
	scratch_store_short v68, v41, off
	scratch_store_short v68, v43, off offset:8
	scratch_store_short v69, v10, off
	v_lshlrev_b32_e32 v10, 1, v34
	v_or3_b32 v34, v10, v35, 8
	v_perm_b32 v52, v33, v32, s0
	v_perm_b32 v55, v2, v66, s0
	;; [unrolled: 1-line block ×3, first 2 shown]
	scratch_store_short v34, v60, off
	scratch_load_dwordx4 v[34:37], off, off offset:128
	v_and_b32_e32 v41, 0xffff, v76
	scratch_store_dwordx4 off, v[52:55], off offset:106
	scratch_store_short v67, v38, off offset:16
	scratch_store_short v67, v39, off offset:24
	;; [unrolled: 1-line block ×7, first 2 shown]
	v_or_b32_e32 v38, 24, v10
	scratch_store_short v38, v62, off offset:128
	v_mov_b32_dpp v60, v41 quad_perm:[1,2,3,0] row_mask:0xf bank_mask:0xf
	scratch_load_dwordx4 v[38:41], off, off offset:144
	s_nop 0
	scratch_store_short v67, v16, off offset:32
	scratch_store_short v67, v42, off offset:40
	;; [unrolled: 1-line block ×7, first 2 shown]
	v_or_b32_e32 v12, 40, v10
	scratch_store_short v12, v32, off offset:128
	scratch_load_dwordx4 v[42:45], off, off offset:160
	v_or_b32_e32 v16, 56, v10
	v_and_b32_e32 v12, 0xffff, v25
	scratch_store_short v67, v46, off offset:48
	scratch_store_short v67, v47, off offset:56
	;; [unrolled: 1-line block ×8, first 2 shown]
	v_mov_b32_dpp v12, v12 quad_perm:[1,2,3,0] row_mask:0xf bank_mask:0xf
	scratch_load_dwordx4 v[46:49], off, off offset:176
	s_nop 0
	scratch_store_short off, v12, off offset:126
	scratch_store_short v67, v6, off offset:64
	scratch_store_short v67, v50, off offset:72
	;; [unrolled: 1-line block ×7, first 2 shown]
	v_or_b32_e32 v0, 0x48, v10
	v_and_b32_e32 v31, 0xffff, v31
	scratch_store_short v0, v64, off offset:128
	scratch_load_dwordx4 v[50:53], off, off offset:192
	v_mov_b32_dpp v31, v31 quad_perm:[1,2,3,0] row_mask:0xf bank_mask:0xf
	v_perm_b32 v16, v31, v60, s0
	v_or_b32_e32 v0, 0x58, v10
	scratch_store_dword off, v16, off offset:122
	scratch_store_short v67, v15, off offset:80
	scratch_store_short v67, v17, off offset:88
	;; [unrolled: 1-line block ×9, first 2 shown]
	scratch_load_dwordx4 v[54:57], off, off offset:208
	v_or_b32_e32 v0, 0x68, v10
	scratch_store_short v67, v4, off offset:104
	scratch_store_short v67, v5, off offset:112
	;; [unrolled: 1-line block ×10, first 2 shown]
	scratch_load_dwordx4 v[58:61], off, off offset:224
	v_or_b32_e32 v0, 0x78, v10
	scratch_store_short v14, v1, off offset:120
	scratch_store_short v68, v18, off offset:112
	;; [unrolled: 1-line block ×5, first 2 shown]
	scratch_load_dwordx4 v[62:65], off, off offset:240
	s_waitcnt vmcnt(62)
	v_lshrrev_b32_e32 v2, 16, v35
	v_and_b32_e32 v1, 0xffff, v35
	s_nop 0
	v_mov_b32_dpp v35, v2 quad_perm:[3,0,1,2] row_mask:0xf bank_mask:0xf
	v_and_b32_e32 v2, 0xffff, v37
	v_lshrrev_b32_e32 v3, 16, v36
	v_lshrrev_b32_e32 v4, 16, v37
	v_mov_b32_dpp v67, v2 quad_perm:[2,3,0,1] row_mask:0xf bank_mask:0xf
	s_waitcnt vmcnt(56)
	v_lshrrev_b32_e32 v2, 16, v38
	v_mov_b32_dpp v66, v3 quad_perm:[1,2,3,0] row_mask:0xf bank_mask:0xf
	v_mov_b32_dpp v37, v4 quad_perm:[3,0,1,2] row_mask:0xf bank_mask:0xf
	v_mov_b32_dpp v68, v2 quad_perm:[1,2,3,0] row_mask:0xf bank_mask:0xf
	v_and_b32_e32 v2, 0xffff, v39
	v_lshrrev_b32_e32 v3, 16, v39
	v_lshrrev_b32_e32 v4, 16, v40
	v_mov_b32_dpp v69, v2 quad_perm:[2,3,0,1] row_mask:0xf bank_mask:0xf
	v_and_b32_e32 v2, 0xffff, v41
	v_lshrrev_b32_e32 v5, 16, v41
	v_mov_b32_dpp v39, v3 quad_perm:[3,0,1,2] row_mask:0xf bank_mask:0xf
	v_mov_b32_dpp v71, v2 quad_perm:[2,3,0,1] row_mask:0xf bank_mask:0xf
	s_waitcnt vmcnt(47)
	v_lshrrev_b32_e32 v2, 16, v42
	v_mov_b32_dpp v70, v4 quad_perm:[1,2,3,0] row_mask:0xf bank_mask:0xf
	v_mov_b32_dpp v122, v5 quad_perm:[3,0,1,2] row_mask:0xf bank_mask:0xf
	v_mov_b32_dpp v72, v2 quad_perm:[1,2,3,0] row_mask:0xf bank_mask:0xf
	v_and_b32_e32 v2, 0xffff, v43
	v_lshrrev_b32_e32 v3, 16, v43
	v_lshrrev_b32_e32 v4, 16, v44
	v_mov_b32_dpp v73, v2 quad_perm:[2,3,0,1] row_mask:0xf bank_mask:0xf
	v_and_b32_e32 v2, 0xffff, v45
	v_lshrrev_b32_e32 v5, 16, v45
	v_mov_b32_dpp v41, v3 quad_perm:[3,0,1,2] row_mask:0xf bank_mask:0xf
	;; [unrolled: 13-line block ×5, first 2 shown]
	v_mov_b32_dpp v87, v2 quad_perm:[2,3,0,1] row_mask:0xf bank_mask:0xf
	s_waitcnt vmcnt(6)
	v_lshrrev_b32_e32 v2, 16, v58
	v_mov_b32_dpp v86, v4 quad_perm:[1,2,3,0] row_mask:0xf bank_mask:0xf
	v_mov_b32_dpp v57, v5 quad_perm:[3,0,1,2] row_mask:0xf bank_mask:0xf
	;; [unrolled: 1-line block ×3, first 2 shown]
	v_and_b32_e32 v2, 0xffff, v59
	v_lshrrev_b32_e32 v3, 16, v59
	v_lshrrev_b32_e32 v4, 16, v60
	v_mov_b32_dpp v89, v2 quad_perm:[2,3,0,1] row_mask:0xf bank_mask:0xf
	v_and_b32_e32 v2, 0xffff, v61
	v_lshrrev_b32_e32 v5, 16, v61
	v_lshrrev_b32_e32 v0, 16, v34
	v_mov_b32_dpp v91, v2 quad_perm:[2,3,0,1] row_mask:0xf bank_mask:0xf
	s_waitcnt vmcnt(0)
	v_lshrrev_b32_e32 v2, 16, v62
	v_mov_b32_dpp v55, v3 quad_perm:[3,0,1,2] row_mask:0xf bank_mask:0xf
	v_mov_b32_dpp v90, v4 quad_perm:[1,2,3,0] row_mask:0xf bank_mask:0xf
	;; [unrolled: 1-line block ×3, first 2 shown]
	v_and_b32_e32 v2, 0xffff, v63
	v_mov_b32_dpp v61, v5 quad_perm:[3,0,1,2] row_mask:0xf bank_mask:0xf
	v_lshrrev_b32_e32 v3, 16, v63
	v_lshrrev_b32_e32 v4, 16, v64
	;; [unrolled: 1-line block ×3, first 2 shown]
	v_mov_b32_dpp v93, v2 quad_perm:[2,3,0,1] row_mask:0xf bank_mask:0xf
	v_and_b32_e32 v2, 0xffff, v65
	v_mov_b32_dpp v0, v0 quad_perm:[1,2,3,0] row_mask:0xf bank_mask:0xf
	v_mov_b32_dpp v1, v1 quad_perm:[2,3,0,1] row_mask:0xf bank_mask:0xf
	;; [unrolled: 1-line block ×6, first 2 shown]
.LBB0_4:
	s_mov_b32 s0, 0x5040100
	s_waitcnt vmcnt(0)
	v_lshlrev_b32_e32 v4, 1, v96
	v_perm_b32 v2, v66, v36, s0
	v_perm_b32 v0, v0, v34, s0
	;; [unrolled: 1-line block ×4, first 2 shown]
	global_store_dwordx4 v4, v[0:3], s[6:7]
	s_nop 1
	v_perm_b32 v2, v70, v40, s0
	v_perm_b32 v0, v68, v38, s0
	v_perm_b32 v3, v122, v71, s0
	v_perm_b32 v1, v39, v69, s0
	global_store_dwordx4 v4, v[0:3], s[6:7] offset:16
	s_nop 1
	v_perm_b32 v2, v74, v44, s0
	v_perm_b32 v0, v72, v42, s0
	v_perm_b32 v3, v45, v75, s0
	v_perm_b32 v1, v41, v73, s0
	global_store_dwordx4 v4, v[0:3], s[6:7] offset:32
	;; [unrolled: 6-line block ×7, first 2 shown]
	s_endpgm
	.section	.rodata,"a",@progbits
	.p2align	6, 0x0
	.amdhsa_kernel _Z20warp_exchange_kernelILj64ELj16EN6common25StripedToBlockedShuffleOpE12hip_bfloat16EvPT2_S4_b
		.amdhsa_group_segment_fixed_size 0
		.amdhsa_private_segment_fixed_size 272
		.amdhsa_kernarg_size 20
		.amdhsa_user_sgpr_count 2
		.amdhsa_user_sgpr_dispatch_ptr 0
		.amdhsa_user_sgpr_queue_ptr 0
		.amdhsa_user_sgpr_kernarg_segment_ptr 1
		.amdhsa_user_sgpr_dispatch_id 0
		.amdhsa_user_sgpr_kernarg_preload_length 0
		.amdhsa_user_sgpr_kernarg_preload_offset 0
		.amdhsa_user_sgpr_private_segment_size 0
		.amdhsa_uses_dynamic_stack 0
		.amdhsa_enable_private_segment 1
		.amdhsa_system_sgpr_workgroup_id_x 1
		.amdhsa_system_sgpr_workgroup_id_y 0
		.amdhsa_system_sgpr_workgroup_id_z 0
		.amdhsa_system_sgpr_workgroup_info 0
		.amdhsa_system_vgpr_workitem_id 0
		.amdhsa_next_free_vgpr 128
		.amdhsa_next_free_sgpr 8
		.amdhsa_accum_offset 128
		.amdhsa_reserve_vcc 0
		.amdhsa_float_round_mode_32 0
		.amdhsa_float_round_mode_16_64 0
		.amdhsa_float_denorm_mode_32 3
		.amdhsa_float_denorm_mode_16_64 3
		.amdhsa_dx10_clamp 1
		.amdhsa_ieee_mode 1
		.amdhsa_fp16_overflow 0
		.amdhsa_tg_split 0
		.amdhsa_exception_fp_ieee_invalid_op 0
		.amdhsa_exception_fp_denorm_src 0
		.amdhsa_exception_fp_ieee_div_zero 0
		.amdhsa_exception_fp_ieee_overflow 0
		.amdhsa_exception_fp_ieee_underflow 0
		.amdhsa_exception_fp_ieee_inexact 0
		.amdhsa_exception_int_div_zero 0
	.end_amdhsa_kernel
	.section	.text._Z20warp_exchange_kernelILj64ELj16EN6common25StripedToBlockedShuffleOpE12hip_bfloat16EvPT2_S4_b,"axG",@progbits,_Z20warp_exchange_kernelILj64ELj16EN6common25StripedToBlockedShuffleOpE12hip_bfloat16EvPT2_S4_b,comdat
.Lfunc_end0:
	.size	_Z20warp_exchange_kernelILj64ELj16EN6common25StripedToBlockedShuffleOpE12hip_bfloat16EvPT2_S4_b, .Lfunc_end0-_Z20warp_exchange_kernelILj64ELj16EN6common25StripedToBlockedShuffleOpE12hip_bfloat16EvPT2_S4_b
                                        ; -- End function
	.section	.AMDGPU.csdata,"",@progbits
; Kernel info:
; codeLenInByte = 10304
; NumSgprs: 14
; NumVgprs: 128
; NumAgprs: 0
; TotalNumVgprs: 128
; ScratchSize: 272
; MemoryBound: 1
; FloatMode: 240
; IeeeMode: 1
; LDSByteSize: 0 bytes/workgroup (compile time only)
; SGPRBlocks: 1
; VGPRBlocks: 15
; NumSGPRsForWavesPerEU: 14
; NumVGPRsForWavesPerEU: 128
; AccumOffset: 128
; Occupancy: 4
; WaveLimiterHint : 1
; COMPUTE_PGM_RSRC2:SCRATCH_EN: 1
; COMPUTE_PGM_RSRC2:USER_SGPR: 2
; COMPUTE_PGM_RSRC2:TRAP_HANDLER: 0
; COMPUTE_PGM_RSRC2:TGID_X_EN: 1
; COMPUTE_PGM_RSRC2:TGID_Y_EN: 0
; COMPUTE_PGM_RSRC2:TGID_Z_EN: 0
; COMPUTE_PGM_RSRC2:TIDIG_COMP_CNT: 0
; COMPUTE_PGM_RSRC3_GFX90A:ACCUM_OFFSET: 31
; COMPUTE_PGM_RSRC3_GFX90A:TG_SPLIT: 0
	.section	.text._Z20warp_exchange_kernelILj64ELj8EN6common25StripedToBlockedShuffleOpElEvPT2_S3_b,"axG",@progbits,_Z20warp_exchange_kernelILj64ELj8EN6common25StripedToBlockedShuffleOpElEvPT2_S3_b,comdat
	.protected	_Z20warp_exchange_kernelILj64ELj8EN6common25StripedToBlockedShuffleOpElEvPT2_S3_b ; -- Begin function _Z20warp_exchange_kernelILj64ELj8EN6common25StripedToBlockedShuffleOpElEvPT2_S3_b
	.globl	_Z20warp_exchange_kernelILj64ELj8EN6common25StripedToBlockedShuffleOpElEvPT2_S3_b
	.p2align	8
	.type	_Z20warp_exchange_kernelILj64ELj8EN6common25StripedToBlockedShuffleOpElEvPT2_S3_b,@function
_Z20warp_exchange_kernelILj64ELj8EN6common25StripedToBlockedShuffleOpElEvPT2_S3_b: ; @_Z20warp_exchange_kernelILj64ELj8EN6common25StripedToBlockedShuffleOpElEvPT2_S3_b
; %bb.0:
	s_load_dword s2, s[0:1], 0x10
	s_load_dwordx4 s[4:7], s[0:1], 0x0
	v_lshlrev_b32_e32 v1, 6, v0
	v_lshlrev_b32_e32 v0, 9, v0
	scratch_store_dword off, v1, off offset:1104 ; 4-byte Folded Spill
	v_mbcnt_lo_u32_b32 v1, -1, 0
	s_waitcnt lgkmcnt(0)
	global_load_dwordx4 v[2:5], v0, s[4:5] offset:48
	v_mbcnt_hi_u32_b32 v1, -1, v1
	s_bitcmp0_b32 s2, 0
	s_waitcnt vmcnt(0)
	scratch_store_dwordx4 off, v[2:5], off offset:1024 ; 16-byte Folded Spill
	global_load_dwordx4 v[92:95], v0, s[4:5] offset:32
	global_load_dwordx4 v[96:99], v0, s[4:5] offset:16
	global_load_dwordx4 v[100:103], v0, s[4:5]
	global_load_dwordx4 v[70:73], v0, s[4:5] offset:112
	global_load_dwordx4 v[78:81], v0, s[4:5] offset:96
	;; [unrolled: 1-line block ×10, first 2 shown]
	s_nop 0
	scratch_store_dword off, v1, off offset:1124 ; 4-byte Folded Spill
	global_load_dwordx4 v[6:9], v0, s[4:5] offset:208
	global_load_dwordx4 v[14:17], v0, s[4:5] offset:192
	;; [unrolled: 1-line block ×15, first 2 shown]
	s_waitcnt vmcnt(0)
	scratch_store_dwordx4 off, v[10:13], off offset:1128 ; 16-byte Folded Spill
	global_load_dwordx4 v[10:13], v0, s[4:5] offset:480
	s_nop 0
	global_load_dwordx4 v[18:21], v0, s[4:5] offset:464
	global_load_dwordx4 v[22:25], v0, s[4:5] offset:448
	s_nop 0
	scratch_store_dwordx4 off, v[70:73], off offset:1144 ; 16-byte Folded Spill
	scratch_store_dwordx4 off, v[92:95], off offset:1108 ; 16-byte Folded Spill
	;; [unrolled: 1-line block ×15, first 2 shown]
	s_waitcnt vmcnt(17)
	scratch_store_dwordx4 off, v[10:13], off offset:1368 ; 16-byte Folded Spill
	s_waitcnt vmcnt(17)
	scratch_store_dwordx4 off, v[18:21], off offset:1384 ; 16-byte Folded Spill
	;; [unrolled: 2-line block ×3, first 2 shown]
	scratch_store_dwordx4 off, v[26:29], off offset:1416 ; 16-byte Folded Spill
	scratch_store_dwordx4 off, v[30:33], off offset:1432 ; 16-byte Folded Spill
	;; [unrolled: 1-line block ×12, first 2 shown]
	s_cbranch_scc0 .LBB1_2
; %bb.1:
	scratch_store_dwordx4 off, v[100:103], off
	scratch_store_dwordx4 off, v[96:99], off offset:16
	scratch_store_dwordx4 off, v[92:95], off offset:32
	scratch_load_dwordx4 v[92:95], off, off offset:1024 ; 16-byte Folded Reload
	s_waitcnt vmcnt(0)
	scratch_store_dwordx4 off, v[92:95], off offset:48
	scratch_store_dwordx4 off, v[104:107], off offset:64
	scratch_store_dwordx4 off, v[88:91], off offset:80
	scratch_store_dwordx4 off, v[78:81], off offset:96
	scratch_store_dwordx4 off, v[70:73], off offset:112
	scratch_store_dwordx4 off, v[122:125], off offset:128
	scratch_store_dwordx4 off, v[118:121], off offset:144
	scratch_store_dwordx4 off, v[112:115], off offset:160
	scratch_store_dwordx4 off, v[108:111], off offset:176
	scratch_store_dwordx4 off, v[14:17], off offset:192
	scratch_store_dwordx4 off, v[6:9], off offset:208
	scratch_store_dwordx4 off, v[66:69], off offset:224
	scratch_store_dwordx4 off, v[2:5], off offset:240
	scratch_store_dwordx4 off, v[82:85], off offset:256
	scratch_store_dwordx4 off, v[74:77], off offset:272
	scratch_store_dwordx4 off, v[62:65], off offset:288
	scratch_store_dwordx4 off, v[58:61], off offset:304
	scratch_store_dwordx4 off, v[54:57], off offset:320
	scratch_store_dwordx4 off, v[50:53], off offset:336
	scratch_store_dwordx4 off, v[46:49], off offset:352
	scratch_store_dwordx4 off, v[42:45], off offset:368
	scratch_store_dwordx4 off, v[38:41], off offset:384
	scratch_store_dwordx4 off, v[34:37], off offset:400
	scratch_store_dwordx4 off, v[30:33], off offset:416
	scratch_store_dwordx4 off, v[26:29], off offset:432
	scratch_store_dwordx4 off, v[22:25], off offset:448
	scratch_store_dwordx4 off, v[18:21], off offset:464
	scratch_store_dwordx4 off, v[10:13], off offset:480
	v_mov_b64_e32 v[94:95], v[20:21]
	v_mov_b64_e32 v[92:93], v[18:19]
	;; [unrolled: 1-line block ×6, first 2 shown]
	scratch_load_dwordx4 v[96:99], off, off offset:1128 ; 16-byte Folded Reload
	scratch_load_dword v127, off, off offset:1124 ; 4-byte Folded Reload
	s_waitcnt vmcnt(0)
	v_lshlrev_b32_e32 v0, 2, v127
	v_xor_b32_e32 v126, 16, v0
	ds_bpermute_b32 v86, v126, v74
	ds_bpermute_b32 v87, v126, v75
	;; [unrolled: 1-line block ×8, first 2 shown]
	v_mov_b64_e32 v[84:85], v[56:57]
	v_mov_b64_e32 v[82:83], v[54:55]
	s_waitcnt lgkmcnt(4)
	scratch_store_dwordx2 off, v[74:75], off offset:1632 ; 8-byte Folded Spill
	ds_bpermute_b32 v74, v126, v58
	ds_bpermute_b32 v75, v126, v59
	;; [unrolled: 1-line block ×4, first 2 shown]
	v_bfe_u32 v65, v127, 2, 1
	scratch_store_dwordx4 off, v[96:99], off offset:496
	ds_bpermute_b32 v56, v126, v76
	ds_bpermute_b32 v57, v126, v77
	s_waitcnt lgkmcnt(2)
	scratch_store_dwordx2 off, v[58:59], off offset:1616 ; 8-byte Folded Spill
	ds_bpermute_b32 v58, v126, v84
	ds_bpermute_b32 v59, v126, v85
	v_mov_b64_e32 v[84:85], v[40:41]
	v_mov_b64_e32 v[82:83], v[38:39]
	ds_bpermute_b32 v40, v126, v52
	ds_bpermute_b32 v41, v126, v53
	;; [unrolled: 1-line block ×8, first 2 shown]
	s_waitcnt lgkmcnt(8)
	scratch_store_dwordx2 off, v[58:59], off offset:1608 ; 8-byte Folded Spill
	ds_bpermute_b32 v58, v126, v50
	ds_bpermute_b32 v59, v126, v51
	;; [unrolled: 1-line block ×3, first 2 shown]
	s_waitcnt lgkmcnt(3)
	scratch_store_dwordx2 off, v[34:35], off offset:1056 ; 8-byte Folded Spill
	ds_bpermute_b32 v34, v126, v94
	ds_bpermute_b32 v35, v126, v95
	ds_bpermute_b32 v39, v126, v47
	ds_bpermute_b32 v50, v126, v48
	ds_bpermute_b32 v51, v126, v49
	ds_bpermute_b32 v48, v126, v44
	ds_bpermute_b32 v49, v126, v45
	ds_bpermute_b32 v46, v126, v82
	ds_bpermute_b32 v47, v126, v83
	ds_bpermute_b32 v44, v126, v84
	ds_bpermute_b32 v45, v126, v85
	v_mov_b64_e32 v[84:85], v[24:25]
	s_waitcnt lgkmcnt(9)
	scratch_store_dwordx2 off, v[34:35], off offset:1040 ; 8-byte Folded Spill
	ds_bpermute_b32 v34, v126, v10
	ds_bpermute_b32 v35, v126, v11
	v_mov_b64_e32 v[82:83], v[22:23]
	ds_bpermute_b32 v22, v126, v30
	ds_bpermute_b32 v23, v126, v31
	;; [unrolled: 1-line block ×8, first 2 shown]
	v_mov_b64_e32 v[84:85], v[68:69]
	v_mov_b64_e32 v[82:83], v[66:67]
	v_lshlrev_b32_e32 v66, 3, v65
	v_or_b32_e32 v68, 0, v66
	scratch_store_dwordx2 off, v[58:59], off offset:1088 ; 8-byte Folded Spill
	s_waitcnt lgkmcnt(14)
	scratch_store_dwordx2 off, v[50:51], off offset:1072 ; 8-byte Folded Spill
	s_waitcnt lgkmcnt(8)
	scratch_store_dwordx2 off, v[34:35], off offset:1624 ; 8-byte Folded Spill
	scratch_store_dwordx2 v68, v[100:101], off
	scratch_store_dwordx2 v68, v[102:103], off offset:16
	scratch_store_dwordx2 v68, v[6:7], off offset:32
	;; [unrolled: 1-line block ×3, first 2 shown]
	scratch_load_dwordx4 v[6:9], off, off offset:1108 ; 16-byte Folded Reload
	ds_bpermute_b32 v54, v126, v62
	ds_bpermute_b32 v55, v126, v63
	;; [unrolled: 1-line block ×8, first 2 shown]
	v_mov_b64_e32 v[94:95], v[4:5]
	v_mov_b64_e32 v[92:93], v[2:3]
	v_mov_b32_e32 v67, 0
	v_xor_b32_e32 v62, 3, v65
	v_xor_b32_e32 v58, 7, v65
	ds_bpermute_b32 v76, v126, v60
	v_lshlrev_b32_e32 v62, 3, v62
	v_sub_u32_e32 v60, 0, v66
	v_lshlrev_b32_e32 v58, 3, v58
	ds_bpermute_b32 v77, v126, v61
	v_xor_b32_e32 v50, 15, v65
	v_lshlrev_b32_e32 v50, 3, v50
	v_xor_b32_e32 v34, 31, v65
	v_lshlrev_b32_e32 v34, 3, v34
	ds_bpermute_b32 v4, v126, v12
	ds_bpermute_b32 v5, v126, v13
	;; [unrolled: 1-line block ×6, first 2 shown]
	s_waitcnt vmcnt(0)
	scratch_store_dwordx2 v68, v[6:7], off offset:64
	scratch_store_dwordx2 v68, v[8:9], off offset:80
	scratch_load_dwordx4 v[6:9], off, off offset:1024 ; 16-byte Folded Reload
	s_waitcnt vmcnt(0)
	scratch_store_dwordx2 v68, v[6:7], off offset:96
	scratch_store_dwordx2 v68, v[8:9], off offset:112
	scratch_store_dwordx2 v68, v[104:105], off offset:128
	scratch_store_dwordx2 v68, v[106:107], off offset:144
	scratch_store_dwordx2 v68, v[88:89], off offset:160
	scratch_store_dwordx2 v68, v[90:91], off offset:176
	scratch_store_dwordx2 v68, v[78:79], off offset:192
	scratch_store_dwordx2 v68, v[80:81], off offset:208
	scratch_store_dwordx2 v68, v[70:71], off offset:224
	scratch_store_dwordx2 v68, v[72:73], off offset:240
	scratch_store_dwordx2 v68, v[122:123], off offset:256
	scratch_store_dwordx2 v68, v[124:125], off offset:272
	scratch_store_dwordx2 v68, v[118:119], off offset:288
	scratch_store_dwordx2 v68, v[120:121], off offset:304
	scratch_store_dwordx2 v68, v[112:113], off offset:320
	scratch_store_dwordx2 v68, v[114:115], off offset:336
	scratch_store_dwordx2 v68, v[108:109], off offset:352
	scratch_store_dwordx2 v68, v[110:111], off offset:368
	scratch_store_dwordx2 v68, v[14:15], off offset:384
	scratch_store_dwordx2 v68, v[16:17], off offset:400
	scratch_store_dwordx2 v68, v[18:19], off offset:416
	scratch_store_dwordx2 v68, v[20:21], off offset:432
	scratch_store_dwordx2 v68, v[82:83], off offset:448
	scratch_store_dwordx2 v68, v[84:85], off offset:464
	scratch_store_dwordx2 v68, v[92:93], off offset:480
	scratch_store_dwordx2 v68, v[94:95], off offset:496
	v_xor_b32_e32 v68, 1, v65
	v_lshl_or_b32 v67, v68, 3, v67
	scratch_store_dwordx2 v67, v[0:1], off
	scratch_store_dwordx2 v62, v[116:117], off
	scratch_store_dwordx2 v60, v[86:87], off offset:40
	scratch_store_dwordx2 v58, v[56:57], off
	s_waitcnt lgkmcnt(14)
	scratch_store_dwordx2 v60, v[54:55], off offset:72
	scratch_load_dwordx2 v[0:1], off, off offset:1632 ; 8-byte Folded Reload
	v_and_b32_e32 v112, 3, v127
	v_lshlrev_b32_e32 v113, 3, v112
	s_waitcnt vmcnt(0)
	scratch_store_dwordx2 v60, v[0:1], off offset:88
	scratch_store_dwordx2 v60, v[74:75], off offset:104
	scratch_load_dwordx2 v[0:1], off, off offset:1616 ; 8-byte Folded Reload
	s_waitcnt lgkmcnt(6)
	scratch_store_dwordx2 v50, v[76:77], off
	s_waitcnt vmcnt(1)
	scratch_store_dwordx2 v60, v[0:1], off offset:136
	scratch_load_dwordx2 v[0:1], off, off offset:1608 ; 8-byte Folded Reload
	s_waitcnt vmcnt(0)
	scratch_store_dwordx2 v60, v[0:1], off offset:152
	scratch_load_dwordx2 v[0:1], off, off offset:1088 ; 8-byte Folded Reload
	s_waitcnt vmcnt(0)
	scratch_store_dwordx2 v60, v[0:1], off offset:168
	scratch_store_dwordx2 v60, v[40:41], off offset:184
	;; [unrolled: 1-line block ×3, first 2 shown]
	scratch_load_dwordx2 v[0:1], off, off offset:1072 ; 8-byte Folded Reload
	s_waitcnt vmcnt(0)
	scratch_store_dwordx2 v60, v[0:1], off offset:216
	scratch_store_dwordx2 v60, v[52:53], off offset:232
	scratch_store_dwordx2 v34, v[48:49], off
	scratch_store_dwordx2 v60, v[46:47], off offset:264
	scratch_store_dwordx2 v60, v[44:45], off offset:280
	;; [unrolled: 1-line block ×5, first 2 shown]
	scratch_load_dwordx2 v[0:1], off, off offset:1056 ; 8-byte Folded Reload
	s_waitcnt vmcnt(0)
	scratch_store_dwordx2 v60, v[0:1], off offset:344
	scratch_store_dwordx2 v60, v[36:37], off offset:360
	;; [unrolled: 1-line block ×6, first 2 shown]
	scratch_load_dwordx2 v[0:1], off, off offset:1040 ; 8-byte Folded Reload
	s_waitcnt vmcnt(0)
	scratch_store_dwordx2 v60, v[0:1], off offset:440
	scratch_load_dwordx2 v[0:1], off, off offset:1624 ; 8-byte Folded Reload
	s_waitcnt vmcnt(0)
	scratch_store_dwordx2 v60, v[0:1], off offset:456
	s_waitcnt lgkmcnt(4)
	scratch_store_dwordx2 v60, v[4:5], off offset:472
	s_waitcnt lgkmcnt(2)
	scratch_store_dwordx2 v60, v[2:3], off offset:488
	scratch_load_dwordx2 v[0:1], off, off offset:8
	scratch_load_dwordx2 v[114:115], off, off
	v_xor_b32_e32 v2, 63, v65
	v_lshlrev_b32_e32 v2, 3, v2
	s_waitcnt lgkmcnt(0)
	scratch_store_dwordx2 v2, v[10:11], off
	s_waitcnt vmcnt(2)
	ds_bpermute_b32 v110, v126, v0
	ds_bpermute_b32 v111, v126, v1
	scratch_load_dwordx2 v[0:1], off, off offset:24
	s_waitcnt vmcnt(0)
	ds_bpermute_b32 v96, v126, v0
	ds_bpermute_b32 v97, v126, v1
	scratch_load_dwordx2 v[0:1], off, off offset:40
	;; [unrolled: 4-line block ×6, first 2 shown]
	s_waitcnt vmcnt(0)
	ds_bpermute_b32 v106, v126, v0
	ds_bpermute_b32 v107, v126, v1
	scratch_load_dwordx4 v[0:3], off, off offset:120
	s_waitcnt vmcnt(0)
	ds_bpermute_b32 v108, v126, v0
	ds_bpermute_b32 v109, v126, v1
	scratch_load_dwordx2 v[0:1], off, off offset:136
	v_mov_b32_dpp v64, v2 quad_perm:[3,0,1,2] row_mask:0xf bank_mask:0xf
	v_mov_b32_dpp v65, v3 quad_perm:[3,0,1,2] row_mask:0xf bank_mask:0xf
	s_waitcnt lgkmcnt(14)
	scratch_store_dwordx2 off, v[110:111], off offset:8
	s_waitcnt lgkmcnt(12)
	scratch_store_dwordx2 off, v[96:97], off offset:24
	;; [unrolled: 2-line block ×8, first 2 shown]
	s_waitcnt vmcnt(8)
	ds_bpermute_b32 v0, v126, v0
	ds_bpermute_b32 v1, v126, v1
	s_waitcnt lgkmcnt(0)
	scratch_store_dwordx2 off, v[0:1], off offset:136
	scratch_load_dwordx2 v[0:1], off, off offset:152
	s_waitcnt vmcnt(0)
	ds_bpermute_b32 v0, v126, v0
	ds_bpermute_b32 v1, v126, v1
	s_waitcnt lgkmcnt(0)
	scratch_store_dwordx2 off, v[0:1], off offset:152
	scratch_load_dwordx2 v[0:1], off, off offset:168
	;; [unrolled: 6-line block ×23, first 2 shown]
	s_waitcnt vmcnt(0)
	ds_bpermute_b32 v0, v126, v0
	ds_bpermute_b32 v1, v126, v1
	s_waitcnt lgkmcnt(0)
	scratch_store_dwordx2 off, v[0:1], off offset:504
	scratch_load_dwordx4 v[0:3], off, off offset:136
	s_waitcnt vmcnt(0)
	s_nop 0
	v_mov_b32_dpp v66, v0 quad_perm:[3,0,1,2] row_mask:0xf bank_mask:0xf
	v_mov_b32_dpp v67, v1 quad_perm:[3,0,1,2] row_mask:0xf bank_mask:0xf
	v_mov_b32_dpp v68, v2 quad_perm:[3,0,1,2] row_mask:0xf bank_mask:0xf
	v_mov_b32_dpp v69, v3 quad_perm:[3,0,1,2] row_mask:0xf bank_mask:0xf
	scratch_load_dwordx4 v[0:3], off, off offset:152
	s_nop 0
	scratch_store_dwordx4 off, v[64:67], off offset:128
	s_waitcnt vmcnt(1)
	v_mov_b32_dpp v70, v0 quad_perm:[3,0,1,2] row_mask:0xf bank_mask:0xf
	v_mov_b32_dpp v71, v1 quad_perm:[3,0,1,2] row_mask:0xf bank_mask:0xf
	v_mov_b32_dpp v72, v2 quad_perm:[3,0,1,2] row_mask:0xf bank_mask:0xf
	v_mov_b32_dpp v73, v3 quad_perm:[3,0,1,2] row_mask:0xf bank_mask:0xf
	scratch_load_dwordx4 v[0:3], off, off offset:168
	s_nop 0
	scratch_store_dwordx4 off, v[68:71], off offset:144
	s_waitcnt vmcnt(1)
	;; [unrolled: 8-line block ×22, first 2 shown]
	v_mov_b32_dpp v6, v0 quad_perm:[1,2,3,0] row_mask:0xf bank_mask:0xf
	v_mov_b32_dpp v7, v1 quad_perm:[1,2,3,0] row_mask:0xf bank_mask:0xf
	;; [unrolled: 1-line block ×4, first 2 shown]
	scratch_load_dwordx2 v[2:3], off, off offset:504
	s_nop 0
	scratch_store_dwordx4 off, v[4:7], off offset:480
	s_waitcnt vmcnt(1)
	v_mov_b32_dpp v2, v2 quad_perm:[1,2,3,0] row_mask:0xf bank_mask:0xf
	v_mov_b32_dpp v3, v3 quad_perm:[1,2,3,0] row_mask:0xf bank_mask:0xf
	scratch_store_dwordx4 off, v[0:3], off offset:496
	scratch_store_dwordx2 v113, v[114:115], off offset:512
	scratch_store_dwordx2 v113, v[110:111], off offset:544
	scratch_load_dwordx2 v[110:111], off, off offset:16
	s_waitcnt vmcnt(0)
	scratch_store_dwordx2 v113, v[110:111], off offset:576
	scratch_store_dwordx2 v113, v[96:97], off offset:608
	scratch_load_dwordx2 v[96:97], off, off offset:32
	s_waitcnt vmcnt(0)
	;; [unrolled: 4-line block ×7, first 2 shown]
	scratch_store_dwordx2 v113, v[96:97], off offset:960
	scratch_store_dwordx2 v113, v[108:109], off offset:992
	v_add_u32_e32 v96, -1, v127
	v_and_b32_e32 v96, 3, v96
	v_lshlrev_b32_e32 v96, 3, v96
	scratch_store_dwordx2 v96, v[64:65], off offset:512
	scratch_store_dwordx2 v96, v[66:67], off offset:544
	;; [unrolled: 1-line block ×16, first 2 shown]
	v_xor_b32_e32 v64, 2, v112
	v_lshlrev_b32_e32 v65, 3, v64
	scratch_store_dwordx2 v65, v[36:37], off offset:512
	scratch_store_dwordx2 v65, v[38:39], off offset:544
	;; [unrolled: 1-line block ×16, first 2 shown]
	v_add_u32_e32 v32, 3, v64
	v_and_b32_e32 v33, 3, v32
	v_lshlrev_b32_e32 v33, 3, v33
	scratch_store_dwordx2 v33, v[28:29], off offset:512
	v_lshlrev_b32_e32 v28, 3, v32
	v_or_b32_e32 v29, 32, v28
	scratch_store_dwordx2 v29, v[30:31], off offset:512
	scratch_store_dwordx2 v33, v[24:25], off offset:576
	v_or_b32_e32 v24, 0x60, v28
	scratch_store_dwordx2 v24, v[26:27], off offset:512
	scratch_store_dwordx2 v33, v[20:21], off offset:640
	;; [unrolled: 3-line block ×7, first 2 shown]
	v_or_b32_e32 v0, 0x1e0, v28
	scratch_store_dwordx2 v0, v[2:3], off offset:512
	scratch_load_dwordx4 v[0:3], off, off offset:520
	s_nop 0
	scratch_load_dwordx4 v[4:7], off, off offset:776
	s_waitcnt vmcnt(1)
	v_mov_b32_dpp v108, v0 quad_perm:[1,2,3,0] row_mask:0xf bank_mask:0xf
	v_mov_b32_dpp v109, v1 quad_perm:[1,2,3,0] row_mask:0xf bank_mask:0xf
	scratch_load_dwordx2 v[0:1], off, off offset:536
	s_waitcnt vmcnt(1)
	v_mov_b32_dpp v34, v4 quad_perm:[1,2,3,0] row_mask:0xf bank_mask:0xf
	v_mov_b32_dpp v35, v5 quad_perm:[1,2,3,0] row_mask:0xf bank_mask:0xf
	scratch_load_dwordx2 v[4:5], off, off offset:792
	v_mov_b32_dpp v110, v2 quad_perm:[2,3,0,1] row_mask:0xf bank_mask:0xf
	v_mov_b32_dpp v111, v3 quad_perm:[2,3,0,1] row_mask:0xf bank_mask:0xf
	;; [unrolled: 1-line block ×4, first 2 shown]
	scratch_store_dwordx4 off, v[108:111], off offset:520
	s_waitcnt vmcnt(2)
	v_mov_b32_dpp v122, v0 quad_perm:[3,0,1,2] row_mask:0xf bank_mask:0xf
	v_mov_b32_dpp v123, v1 quad_perm:[3,0,1,2] row_mask:0xf bank_mask:0xf
	scratch_load_dwordx4 v[0:3], off, off offset:552
	s_waitcnt vmcnt(2)
	v_mov_b32_dpp v62, v4 quad_perm:[3,0,1,2] row_mask:0xf bank_mask:0xf
	v_mov_b32_dpp v63, v5 quad_perm:[3,0,1,2] row_mask:0xf bank_mask:0xf
	scratch_load_dwordx4 v[4:7], off, off offset:808
	s_waitcnt vmcnt(1)
	v_mov_b32_dpp v104, v0 quad_perm:[1,2,3,0] row_mask:0xf bank_mask:0xf
	v_mov_b32_dpp v105, v1 quad_perm:[1,2,3,0] row_mask:0xf bank_mask:0xf
	scratch_load_dwordx2 v[0:1], off, off offset:568
	s_waitcnt vmcnt(1)
	v_mov_b32_dpp v4, v4 quad_perm:[1,2,3,0] row_mask:0xf bank_mask:0xf
	v_mov_b32_dpp v5, v5 quad_perm:[1,2,3,0] row_mask:0xf bank_mask:0xf
	v_mov_b64_e32 v[18:19], v[4:5]
	scratch_load_dwordx2 v[4:5], off, off offset:824
	v_mov_b32_dpp v106, v2 quad_perm:[2,3,0,1] row_mask:0xf bank_mask:0xf
	v_mov_b32_dpp v107, v3 quad_perm:[2,3,0,1] row_mask:0xf bank_mask:0xf
	;; [unrolled: 1-line block ×4, first 2 shown]
	scratch_store_dwordx2 off, v[122:123], off offset:536
	scratch_store_dwordx4 off, v[104:107], off offset:552
	s_waitcnt vmcnt(3)
	v_mov_b32_dpp v118, v0 quad_perm:[3,0,1,2] row_mask:0xf bank_mask:0xf
	v_mov_b32_dpp v119, v1 quad_perm:[3,0,1,2] row_mask:0xf bank_mask:0xf
	scratch_load_dwordx4 v[0:3], off, off offset:584
	s_waitcnt vmcnt(3)
	v_mov_b32_dpp v54, v4 quad_perm:[3,0,1,2] row_mask:0xf bank_mask:0xf
	v_mov_b32_dpp v55, v5 quad_perm:[3,0,1,2] row_mask:0xf bank_mask:0xf
	scratch_load_dwordx4 v[4:7], off, off offset:840
	s_waitcnt vmcnt(1)
	v_mov_b32_dpp v100, v0 quad_perm:[1,2,3,0] row_mask:0xf bank_mask:0xf
	v_mov_b32_dpp v101, v1 quad_perm:[1,2,3,0] row_mask:0xf bank_mask:0xf
	scratch_load_dwordx2 v[0:1], off, off offset:600
	v_mov_b32_dpp v102, v2 quad_perm:[2,3,0,1] row_mask:0xf bank_mask:0xf
	s_waitcnt vmcnt(1)
	v_mov_b32_dpp v4, v4 quad_perm:[1,2,3,0] row_mask:0xf bank_mask:0xf
	v_mov_b32_dpp v5, v5 quad_perm:[1,2,3,0] row_mask:0xf bank_mask:0xf
	v_mov_b64_e32 v[26:27], v[4:5]
	scratch_load_dwordx2 v[4:5], off, off offset:856
	v_mov_b32_dpp v103, v3 quad_perm:[2,3,0,1] row_mask:0xf bank_mask:0xf
	v_mov_b32_dpp v44, v6 quad_perm:[2,3,0,1] row_mask:0xf bank_mask:0xf
	;; [unrolled: 1-line block ×3, first 2 shown]
	scratch_store_dwordx2 off, v[118:119], off offset:568
	scratch_store_dwordx4 off, v[100:103], off offset:584
	v_mov_b64_e32 v[58:59], v[26:27]
	s_waitcnt vmcnt(3)
	v_mov_b32_dpp v112, v0 quad_perm:[3,0,1,2] row_mask:0xf bank_mask:0xf
	v_mov_b32_dpp v113, v1 quad_perm:[3,0,1,2] row_mask:0xf bank_mask:0xf
	scratch_load_dwordx4 v[0:3], off, off offset:616
	s_waitcnt vmcnt(3)
	v_mov_b32_dpp v46, v4 quad_perm:[3,0,1,2] row_mask:0xf bank_mask:0xf
	v_mov_b32_dpp v47, v5 quad_perm:[3,0,1,2] row_mask:0xf bank_mask:0xf
	scratch_load_dwordx4 v[4:7], off, off offset:872
	s_waitcnt vmcnt(1)
	v_mov_b32_dpp v96, v0 quad_perm:[1,2,3,0] row_mask:0xf bank_mask:0xf
	v_mov_b32_dpp v97, v1 quad_perm:[1,2,3,0] row_mask:0xf bank_mask:0xf
	scratch_load_dwordx2 v[0:1], off, off offset:632
	v_mov_b32_dpp v98, v2 quad_perm:[2,3,0,1] row_mask:0xf bank_mask:0xf
	v_mov_b32_dpp v99, v3 quad_perm:[2,3,0,1] row_mask:0xf bank_mask:0xf
	s_waitcnt vmcnt(1)
	v_mov_b32_dpp v4, v4 quad_perm:[1,2,3,0] row_mask:0xf bank_mask:0xf
	v_mov_b32_dpp v5, v5 quad_perm:[1,2,3,0] row_mask:0xf bank_mask:0xf
	v_mov_b64_e32 v[40:41], v[4:5]
	scratch_load_dwordx2 v[4:5], off, off offset:888
	v_mov_b32_dpp v36, v6 quad_perm:[2,3,0,1] row_mask:0xf bank_mask:0xf
	v_mov_b32_dpp v37, v7 quad_perm:[2,3,0,1] row_mask:0xf bank_mask:0xf
	scratch_store_dwordx2 off, v[112:113], off offset:600
	scratch_store_dwordx4 off, v[96:99], off offset:616
	v_mov_b64_e32 v[14:15], v[40:41]
	s_waitcnt vmcnt(3)
	v_mov_b32_dpp v114, v0 quad_perm:[3,0,1,2] row_mask:0xf bank_mask:0xf
	v_mov_b32_dpp v115, v1 quad_perm:[3,0,1,2] row_mask:0xf bank_mask:0xf
	scratch_load_dwordx4 v[0:3], off, off offset:648
	s_waitcnt vmcnt(3)
	v_mov_b32_dpp v38, v4 quad_perm:[3,0,1,2] row_mask:0xf bank_mask:0xf
	v_mov_b32_dpp v39, v5 quad_perm:[3,0,1,2] row_mask:0xf bank_mask:0xf
	scratch_load_dwordx4 v[4:7], off, off offset:904
	s_waitcnt vmcnt(1)
	v_mov_b32_dpp v50, v0 quad_perm:[1,2,3,0] row_mask:0xf bank_mask:0xf
	v_mov_b32_dpp v51, v1 quad_perm:[1,2,3,0] row_mask:0xf bank_mask:0xf
	scratch_load_dwordx2 v[0:1], off, off offset:664
	v_mov_b32_dpp v88, v2 quad_perm:[2,3,0,1] row_mask:0xf bank_mask:0xf
	v_mov_b32_dpp v89, v3 quad_perm:[2,3,0,1] row_mask:0xf bank_mask:0xf
	scratch_store_dwordx2 off, v[114:115], off offset:632
	s_waitcnt vmcnt(2)
	v_mov_b32_dpp v4, v4 quad_perm:[1,2,3,0] row_mask:0xf bank_mask:0xf
	v_mov_b32_dpp v5, v5 quad_perm:[1,2,3,0] row_mask:0xf bank_mask:0xf
	v_mov_b64_e32 v[42:43], v[4:5]
	scratch_load_dwordx2 v[4:5], off, off offset:920
	v_mov_b32_dpp v28, v6 quad_perm:[2,3,0,1] row_mask:0xf bank_mask:0xf
	v_mov_b32_dpp v29, v7 quad_perm:[2,3,0,1] row_mask:0xf bank_mask:0xf
	s_waitcnt vmcnt(2)
	v_mov_b32_dpp v90, v0 quad_perm:[3,0,1,2] row_mask:0xf bank_mask:0xf
	v_mov_b32_dpp v91, v1 quad_perm:[3,0,1,2] row_mask:0xf bank_mask:0xf
	scratch_load_dwordx4 v[0:3], off, off offset:680
	s_waitcnt vmcnt(1)
	v_mov_b32_dpp v30, v4 quad_perm:[3,0,1,2] row_mask:0xf bank_mask:0xf
	v_mov_b32_dpp v31, v5 quad_perm:[3,0,1,2] row_mask:0xf bank_mask:0xf
	scratch_load_dwordx4 v[4:7], off, off offset:936
	s_waitcnt vmcnt(1)
	v_mov_b32_dpp v12, v0 quad_perm:[1,2,3,0] row_mask:0xf bank_mask:0xf
	v_mov_b32_dpp v13, v1 quad_perm:[1,2,3,0] row_mask:0xf bank_mask:0xf
	scratch_load_dwordx2 v[0:1], off, off offset:696
	v_mov_b32_dpp v80, v2 quad_perm:[2,3,0,1] row_mask:0xf bank_mask:0xf
	v_mov_b32_dpp v81, v3 quad_perm:[2,3,0,1] row_mask:0xf bank_mask:0xf
	s_waitcnt vmcnt(1)
	v_mov_b32_dpp v78, v4 quad_perm:[1,2,3,0] row_mask:0xf bank_mask:0xf
	v_mov_b32_dpp v79, v5 quad_perm:[1,2,3,0] row_mask:0xf bank_mask:0xf
	scratch_load_dwordx2 v[4:5], off, off offset:952
	v_mov_b32_dpp v20, v6 quad_perm:[2,3,0,1] row_mask:0xf bank_mask:0xf
	v_mov_b32_dpp v21, v7 quad_perm:[2,3,0,1] row_mask:0xf bank_mask:0xf
	s_waitcnt vmcnt(1)
	v_mov_b32_dpp v82, v0 quad_perm:[3,0,1,2] row_mask:0xf bank_mask:0xf
	v_mov_b32_dpp v83, v1 quad_perm:[3,0,1,2] row_mask:0xf bank_mask:0xf
	scratch_load_dwordx4 v[0:3], off, off offset:712
	s_waitcnt vmcnt(1)
	v_mov_b32_dpp v22, v4 quad_perm:[3,0,1,2] row_mask:0xf bank_mask:0xf
	v_mov_b32_dpp v23, v5 quad_perm:[3,0,1,2] row_mask:0xf bank_mask:0xf
	scratch_load_dwordx4 v[4:7], off, off offset:968
	s_waitcnt vmcnt(1)
	v_mov_b32_dpp v70, v0 quad_perm:[1,2,3,0] row_mask:0xf bank_mask:0xf
	v_mov_b32_dpp v71, v1 quad_perm:[1,2,3,0] row_mask:0xf bank_mask:0xf
	scratch_load_dwordx2 v[0:1], off, off offset:728
	v_mov_b32_dpp v72, v2 quad_perm:[2,3,0,1] row_mask:0xf bank_mask:0xf
	v_mov_b32_dpp v73, v3 quad_perm:[2,3,0,1] row_mask:0xf bank_mask:0xf
	s_waitcnt vmcnt(1)
	v_mov_b32_dpp v94, v4 quad_perm:[1,2,3,0] row_mask:0xf bank_mask:0xf
	v_mov_b32_dpp v95, v5 quad_perm:[1,2,3,0] row_mask:0xf bank_mask:0xf
	scratch_load_dwordx2 v[4:5], off, off offset:984
	v_mov_b32_dpp v84, v6 quad_perm:[2,3,0,1] row_mask:0xf bank_mask:0xf
	v_mov_b32_dpp v85, v7 quad_perm:[2,3,0,1] row_mask:0xf bank_mask:0xf
	s_waitcnt vmcnt(1)
	v_mov_b32_dpp v74, v0 quad_perm:[3,0,1,2] row_mask:0xf bank_mask:0xf
	v_mov_b32_dpp v75, v1 quad_perm:[3,0,1,2] row_mask:0xf bank_mask:0xf
	scratch_load_dwordx4 v[0:3], off, off offset:744
	s_waitcnt vmcnt(1)
	v_mov_b32_dpp v86, v4 quad_perm:[3,0,1,2] row_mask:0xf bank_mask:0xf
	v_mov_b32_dpp v87, v5 quad_perm:[3,0,1,2] row_mask:0xf bank_mask:0xf
	scratch_load_dwordx4 v[4:7], off, off offset:1000
	s_waitcnt vmcnt(1)
	v_mov_b32_dpp v66, v0 quad_perm:[1,2,3,0] row_mask:0xf bank_mask:0xf
	v_mov_b32_dpp v67, v1 quad_perm:[1,2,3,0] row_mask:0xf bank_mask:0xf
	;; [unrolled: 1-line block ×4, first 2 shown]
	scratch_load_dwordx2 v[2:3], off, off offset:760
	s_waitcnt vmcnt(1)
	v_mov_b32_dpp v4, v4 quad_perm:[1,2,3,0] row_mask:0xf bank_mask:0xf
	v_mov_b32_dpp v5, v5 quad_perm:[1,2,3,0] row_mask:0xf bank_mask:0xf
	v_mov_b64_e32 v[116:117], v[4:5]
	v_mov_b32_dpp v4, v6 quad_perm:[2,3,0,1] row_mask:0xf bank_mask:0xf
	v_mov_b32_dpp v5, v7 quad_perm:[2,3,0,1] row_mask:0xf bank_mask:0xf
	scratch_load_dwordx2 v[6:7], off, off offset:1016
	scratch_load_dwordx2 v[8:9], off, off offset:512
	scratch_load_dwordx2 v[24:25], off, off offset:544
	scratch_load_dwordx2 v[124:125], off, off offset:576
	scratch_load_dwordx2 v[16:17], off, off offset:608
	scratch_load_dwordx2 v[48:49], off, off offset:640
	s_waitcnt vmcnt(6)
	v_mov_b32_dpp v2, v2 quad_perm:[3,0,1,2] row_mask:0xf bank_mask:0xf
	v_mov_b32_dpp v3, v3 quad_perm:[3,0,1,2] row_mask:0xf bank_mask:0xf
	s_waitcnt vmcnt(5)
	v_mov_b32_dpp v6, v6 quad_perm:[3,0,1,2] row_mask:0xf bank_mask:0xf
	s_waitcnt vmcnt(0)
	scratch_store_dwordx4 off, v[48:51], off offset:1088 ; 16-byte Folded Spill
	scratch_load_dwordx2 v[10:11], off, off offset:672
	scratch_load_dwordx2 v[68:69], off, off offset:704
	v_mov_b32_dpp v7, v7 quad_perm:[3,0,1,2] row_mask:0xf bank_mask:0xf
	v_mov_b64_e32 v[50:51], v[116:117]
	s_waitcnt vmcnt(0)
	scratch_store_dwordx4 off, v[68:71], off offset:1072 ; 16-byte Folded Spill
	scratch_load_dwordx2 v[64:65], off, off offset:736
	scratch_load_dwordx2 v[32:33], off, off offset:768
	v_mov_b64_e32 v[70:71], v[12:13]
	v_mov_b64_e32 v[68:69], v[10:11]
	scratch_load_dwordx2 v[56:57], off, off offset:832
	s_waitcnt vmcnt(1)
	scratch_store_dwordx4 off, v[32:35], off offset:1056 ; 16-byte Folded Spill
	s_nop 1
	v_mov_b64_e32 v[32:33], v[64:65]
	v_mov_b64_e32 v[34:35], v[66:67]
	scratch_load_dwordx2 v[64:65], off, off offset:800
	scratch_load_dwordx2 v[12:13], off, off offset:864
	;; [unrolled: 1-line block ×6, first 2 shown]
	v_mov_b64_e32 v[66:67], v[18:19]
	s_waitcnt vmcnt(2)
	scratch_store_dwordx4 off, v[76:79], off offset:1040 ; 16-byte Folded Spill
	s_nop 1
	v_mov_b64_e32 v[78:79], v[66:67]
	v_mov_b64_e32 v[76:77], v[64:65]
	s_cbranch_execz .LBB1_3
	s_branch .LBB1_4
.LBB1_2:
                                        ; implicit-def: $vgpr2_vgpr3
                                        ; implicit-def: $vgpr6_vgpr7
                                        ; implicit-def: $vgpr50_vgpr51
                                        ; implicit-def: $vgpr86_vgpr87
                                        ; implicit-def: $vgpr94_vgpr95
                                        ; implicit-def: $vgpr22_vgpr23
	scratch_store_dwordx4 off, v[0:3], off offset:1040 ; 16-byte Folded Spill
                                        ; implicit-def: $vgpr30_vgpr31
                                        ; implicit-def: $vgpr42_vgpr43
                                        ; implicit-def: $vgpr38_vgpr39
                                        ; implicit-def: $vgpr14_vgpr15
                                        ; implicit-def: $vgpr46_vgpr47
                                        ; implicit-def: $vgpr58_vgpr59
                                        ; implicit-def: $vgpr54_vgpr55
                                        ; implicit-def: $vgpr78_vgpr79
                                        ; implicit-def: $vgpr62_vgpr63
                                        ; implicit-def: $vgpr2_vgpr3
	scratch_store_dwordx4 off, v[0:3], off offset:1056 ; 16-byte Folded Spill
                                        ; implicit-def: $vgpr2_vgpr3
                                        ; implicit-def: $vgpr34_vgpr35
                                        ; implicit-def: $vgpr74_vgpr75
                                        ; implicit-def: $vgpr4_vgpr5
	scratch_store_dwordx4 off, v[2:5], off offset:1072 ; 16-byte Folded Spill
                                        ; implicit-def: $vgpr82_vgpr83
                                        ; implicit-def: $vgpr70_vgpr71
                                        ; implicit-def: $vgpr90_vgpr91
                                        ; implicit-def: $vgpr4_vgpr5
	scratch_store_dwordx4 off, v[2:5], off offset:1088 ; 16-byte Folded Spill
                                        ; implicit-def: $vgpr114_vgpr115
                                        ; implicit-def: $vgpr98_vgpr99
                                        ; implicit-def: $vgpr16_vgpr17
                                        ; implicit-def: $vgpr112_vgpr113
                                        ; implicit-def: $vgpr102_vgpr103
                                        ; implicit-def: $vgpr124_vgpr125
                                        ; implicit-def: $vgpr118_vgpr119
                                        ; implicit-def: $vgpr106_vgpr107
                                        ; implicit-def: $vgpr24_vgpr25
                                        ; implicit-def: $vgpr122_vgpr123
                                        ; implicit-def: $vgpr110_vgpr111
                                        ; implicit-def: $vgpr8_vgpr9
.LBB1_3:
	scratch_load_dword v112, off, off offset:1124 ; 4-byte Folded Reload
	scratch_load_dwordx4 v[68:71], off, off offset:1192 ; 16-byte Folded Reload
	scratch_load_dwordx4 v[6:9], off, off offset:1592 ; 16-byte Folded Reload
	;; [unrolled: 1-line block ×14, first 2 shown]
	s_waitcnt vmcnt(14)
	v_lshlrev_b32_e32 v0, 2, v112
	v_xor_b32_e32 v4, 16, v0
	s_waitcnt vmcnt(12)
	scratch_store_dwordx4 off, v[6:9], off offset:256
	ds_bpermute_b32 v54, v4, v6
	ds_bpermute_b32 v55, v4, v7
	;; [unrolled: 1-line block ×4, first 2 shown]
	scratch_load_dwordx4 v[6:9], off, off offset:1576 ; 16-byte Folded Reload
	s_waitcnt vmcnt(12)
	ds_bpermute_b32 v52, v4, v58
	scratch_store_dwordx4 off, v[58:61], off offset:464
	ds_bpermute_b32 v53, v4, v59
	ds_bpermute_b32 v58, v4, v60
	;; [unrolled: 1-line block ×3, first 2 shown]
	scratch_load_dwordx4 v[60:63], off, off offset:1368 ; 16-byte Folded Reload
	v_bfe_u32 v1, v112, 2, 1
	v_lshlrev_b32_e32 v0, 3, v1
	v_or_b32_e32 v5, 0, v0
	s_waitcnt vmcnt(13)
	scratch_store_dwordx4 off, v[16:19], off offset:320
	s_waitcnt vmcnt(13)
	scratch_store_dwordx4 off, v[20:23], off offset:336
	;; [unrolled: 2-line block ×8, first 2 shown]
	scratch_store_dwordx4 off, v[48:51], off offset:448
	s_waitcnt vmcnt(14)
	scratch_store_dwordx4 off, v[64:67], off
	scratch_store_dwordx4 off, v[68:71], off offset:16
	ds_bpermute_b32 v16, v4, v16
	ds_bpermute_b32 v17, v4, v17
	;; [unrolled: 1-line block ×6, first 2 shown]
	v_sub_u32_e32 v0, 0, v0
	ds_bpermute_b32 v20, v4, v20
	ds_bpermute_b32 v21, v4, v21
	;; [unrolled: 1-line block ×30, first 2 shown]
	s_waitcnt vmcnt(15)
	scratch_store_dwordx4 off, v[12:15], off offset:304
	ds_bpermute_b32 v14, v4, v14
	ds_bpermute_b32 v15, v4, v15
	;; [unrolled: 1-line block ×4, first 2 shown]
	s_waitcnt vmcnt(14)
	scratch_store_dwordx4 off, v[6:9], off offset:272
	ds_bpermute_b32 v56, v4, v6
	ds_bpermute_b32 v57, v4, v7
	;; [unrolled: 1-line block ×4, first 2 shown]
	scratch_load_dwordx4 v[8:11], off, off offset:1560 ; 16-byte Folded Reload
	s_waitcnt vmcnt(14)
	scratch_store_dwordx4 off, v[60:63], off offset:480
	ds_bpermute_b32 v60, v4, v60
	ds_bpermute_b32 v61, v4, v61
	;; [unrolled: 1-line block ×4, first 2 shown]
	s_waitcnt vmcnt(1)
	scratch_store_dwordx4 off, v[8:11], off offset:288
	scratch_store_dwordx2 v5, v[64:65], off
	scratch_store_dwordx2 v5, v[66:67], off offset:16
	scratch_load_dwordx4 v[64:67], off, off offset:1108 ; 16-byte Folded Reload
	ds_bpermute_b32 v8, v4, v8
	scratch_load_dwordx4 v[92:95], off, off offset:1024 ; 16-byte Folded Reload
	ds_bpermute_b32 v9, v4, v9
	ds_bpermute_b32 v10, v4, v10
	;; [unrolled: 1-line block ×3, first 2 shown]
	s_waitcnt vmcnt(1)
	scratch_store_dwordx4 off, v[64:67], off offset:32
	s_waitcnt vmcnt(1)
	scratch_store_dwordx4 off, v[92:95], off offset:48
	scratch_store_dwordx2 v5, v[68:69], off offset:32
	scratch_store_dwordx2 v5, v[70:71], off offset:48
	scratch_load_dwordx4 v[80:83], off, off offset:1224 ; 16-byte Folded Reload
	scratch_load_dwordx4 v[76:79], off, off offset:1176 ; 16-byte Folded Reload
	s_waitcnt vmcnt(1)
	scratch_store_dwordx4 off, v[80:83], off offset:64
	s_waitcnt vmcnt(1)
	scratch_store_dwordx4 off, v[76:79], off offset:80
	scratch_store_dwordx2 v5, v[64:65], off offset:64
	scratch_store_dwordx2 v5, v[66:67], off offset:80
	scratch_load_dwordx4 v[72:75], off, off offset:1160 ; 16-byte Folded Reload
	scratch_load_dwordx4 v[68:71], off, off offset:1144 ; 16-byte Folded Reload
	v_mov_b32_e32 v66, 0
	s_waitcnt vmcnt(1)
	scratch_store_dwordx4 off, v[72:75], off offset:96
	s_waitcnt vmcnt(1)
	scratch_store_dwordx4 off, v[68:71], off offset:112
	scratch_store_dwordx2 v5, v[92:93], off offset:96
	scratch_store_dwordx2 v5, v[94:95], off offset:112
	scratch_load_dwordx4 v[100:103], off, off offset:1288 ; 16-byte Folded Reload
	scratch_load_dwordx4 v[104:107], off, off offset:1304 ; 16-byte Folded Reload
	;; [unrolled: 1-line block ×9, first 2 shown]
	s_waitcnt vmcnt(4)
	ds_bpermute_b32 v64, v4, v84
	scratch_store_dwordx4 off, v[100:103], off offset:128
	scratch_store_dwordx4 off, v[96:99], off offset:144
	s_waitcnt vmcnt(5)
	scratch_store_dwordx4 off, v[92:95], off offset:160
	scratch_store_dwordx4 off, v[88:91], off offset:176
	s_waitcnt vmcnt(6)
	scratch_store_dwordx4 off, v[118:121], off offset:192
	s_waitcnt vmcnt(6)
	;; [unrolled: 2-line block ×3, first 2 shown]
	scratch_store_dwordx4 off, v[108:111], off offset:224
	scratch_store_dwordx4 off, v[104:107], off offset:240
	;; [unrolled: 1-line block ×3, first 2 shown]
	scratch_store_dwordx2 v5, v[80:81], off offset:128
	scratch_store_dwordx2 v5, v[82:83], off offset:144
	;; [unrolled: 1-line block ×24, first 2 shown]
	v_xor_b32_e32 v5, 1, v1
	v_lshl_or_b32 v5, v5, 3, v66
	s_waitcnt lgkmcnt(14)
	scratch_store_dwordx2 v5, v[54:55], off
	v_xor_b32_e32 v5, 3, v1
	v_lshlrev_b32_e32 v5, 3, v5
	scratch_store_dwordx2 v5, v[2:3], off
	v_xor_b32_e32 v2, 7, v1
	v_lshlrev_b32_e32 v2, 3, v2
	s_waitcnt lgkmcnt(11)
	scratch_store_dwordx2 v0, v[56:57], off offset:40
	s_waitcnt lgkmcnt(9)
	scratch_store_dwordx2 v2, v[6:7], off
	s_waitcnt lgkmcnt(3)
	scratch_store_dwordx2 v0, v[8:9], off offset:72
	s_waitcnt lgkmcnt(1)
	scratch_store_dwordx2 v0, v[10:11], off offset:88
	scratch_store_dwordx2 v0, v[12:13], off offset:104
	v_xor_b32_e32 v2, 15, v1
	v_lshlrev_b32_e32 v2, 3, v2
	scratch_store_dwordx2 v2, v[14:15], off
	scratch_store_dwordx2 v0, v[16:17], off offset:136
	scratch_store_dwordx2 v0, v[18:19], off offset:152
	;; [unrolled: 1-line block ×7, first 2 shown]
	v_xor_b32_e32 v2, 31, v1
	v_lshlrev_b32_e32 v2, 3, v2
	ds_bpermute_b32 v65, v4, v85
	scratch_store_dwordx2 v2, v[30:31], off
	scratch_store_dwordx2 v0, v[32:33], off offset:264
	scratch_store_dwordx2 v0, v[34:35], off offset:280
	;; [unrolled: 1-line block ×14, first 2 shown]
	s_waitcnt lgkmcnt(0)
	scratch_store_dwordx2 v0, v[64:65], off offset:488
	scratch_load_dwordx2 v[2:3], off, off offset:136
	scratch_load_dwordx2 v[6:7], off, off offset:152
	;; [unrolled: 1-line block ×19, first 2 shown]
	v_mov_b32_e32 v5, v112
	v_xor_b32_e32 v0, 63, v1
	v_lshlrev_b32_e32 v0, 3, v0
	s_waitcnt vmcnt(18)
	ds_bpermute_b32 v2, v4, v2
	ds_bpermute_b32 v3, v4, v3
	s_waitcnt vmcnt(17)
	ds_bpermute_b32 v6, v4, v6
	ds_bpermute_b32 v7, v4, v7
	;; [unrolled: 3-line block ×3, first 2 shown]
	s_waitcnt lgkmcnt(4)
	scratch_store_dwordx2 off, v[2:3], off offset:136
	scratch_load_dwordx4 v[114:117], off, off offset:136
	ds_bpermute_b32 v2, v4, v8
	ds_bpermute_b32 v3, v4, v9
	s_waitcnt lgkmcnt(4)
	scratch_store_dwordx2 off, v[6:7], off offset:152
	ds_bpermute_b32 v6, v4, v10
	ds_bpermute_b32 v7, v4, v11
	scratch_load_dwordx2 v[36:37], off, off offset:440
	scratch_load_dwordx4 v[78:81], off, off offset:152
	scratch_load_dwordx2 v[42:43], off, off offset:456
	s_waitcnt vmcnt(19)
	ds_bpermute_b32 v26, v4, v16
	s_waitcnt lgkmcnt(3)
	scratch_store_dwordx2 off, v[2:3], off offset:168
	s_waitcnt vmcnt(19)
	ds_bpermute_b32 v2, v4, v24
	ds_bpermute_b32 v3, v4, v25
	scratch_load_dwordx2 v[34:35], off, off offset:8
	scratch_load_dwordx4 v[8:11], off, off offset:168
	ds_bpermute_b32 v27, v4, v17
	s_waitcnt lgkmcnt(4)
	scratch_store_dwordx2 off, v[6:7], off offset:184
	scratch_load_dwordx2 v[50:51], off, off offset:472
	scratch_load_dwordx4 v[12:15], off, off offset:184
	s_waitcnt vmcnt(23)
	ds_bpermute_b32 v6, v4, v28
	ds_bpermute_b32 v7, v4, v29
	s_waitcnt lgkmcnt(3)
	scratch_store_dwordx2 off, v[2:3], off offset:232
	s_waitcnt vmcnt(23)
	ds_bpermute_b32 v2, v4, v38
	ds_bpermute_b32 v3, v4, v39
	scratch_store_dwordx2 off, v[20:21], off offset:200
	s_waitcnt lgkmcnt(4)
	scratch_store_dwordx2 off, v[26:27], off offset:216
	s_waitcnt lgkmcnt(2)
	scratch_store_dwordx2 off, v[6:7], off offset:248
	scratch_load_dwordx4 v[16:19], off, off offset:120
	scratch_load_dwordx4 v[110:113], off, off offset:200
	;; [unrolled: 1-line block ×5, first 2 shown]
	s_waitcnt vmcnt(30)
	ds_bpermute_b32 v6, v4, v32
	s_waitcnt lgkmcnt(1)
	scratch_store_dwordx2 off, v[2:3], off offset:264
	scratch_load_dwordx4 v[46:49], off, off offset:264
	s_nop 0
	scratch_load_dwordx2 v[2:3], off, off offset:24
	ds_bpermute_b32 v7, v4, v33
	v_mov_b64_e32 v[20:21], v[86:87]
	s_waitcnt vmcnt(0)
	scratch_store_dwordx2 off, v[2:3], off offset:1108 ; 8-byte Folded Spill
	s_waitcnt lgkmcnt(0)
	scratch_store_dwordx2 off, v[6:7], off offset:280
	scratch_load_dwordx4 v[54:57], off, off offset:280
	s_nop 0
	scratch_load_dwordx2 v[6:7], off, off offset:40
	ds_bpermute_b32 v2, v4, v64
	ds_bpermute_b32 v3, v4, v65
	;; [unrolled: 1-line block ×3, first 2 shown]
	v_mov_b32_dpp v118, v18 quad_perm:[3,0,1,2] row_mask:0xf bank_mask:0xf
	v_mov_b32_dpp v119, v19 quad_perm:[3,0,1,2] row_mask:0xf bank_mask:0xf
	v_mov_b32_dpp v120, v114 quad_perm:[3,0,1,2] row_mask:0xf bank_mask:0xf
	s_waitcnt lgkmcnt(1)
	scratch_store_dwordx2 off, v[2:3], off offset:296
	ds_bpermute_b32 v2, v4, v66
	ds_bpermute_b32 v3, v4, v67
	v_mov_b32_dpp v121, v115 quad_perm:[3,0,1,2] row_mask:0xf bank_mask:0xf
	v_mov_b32_dpp v114, v116 quad_perm:[3,0,1,2] row_mask:0xf bank_mask:0xf
	v_mov_b32_dpp v115, v117 quad_perm:[3,0,1,2] row_mask:0xf bank_mask:0xf
	v_mov_b32_dpp v116, v78 quad_perm:[3,0,1,2] row_mask:0xf bank_mask:0xf
	s_waitcnt lgkmcnt(0)
	scratch_store_dwordx2 off, v[2:3], off offset:328
	ds_bpermute_b32 v2, v4, v70
	ds_bpermute_b32 v3, v4, v71
	v_mov_b32_dpp v117, v79 quad_perm:[3,0,1,2] row_mask:0xf bank_mask:0xf
	;; [unrolled: 8-line block ×3, first 2 shown]
	v_mov_b32_dpp v58, v10 quad_perm:[3,0,1,2] row_mask:0xf bank_mask:0xf
	scratch_load_dwordx4 v[82:85], off, off offset:328
	v_mov_b32_dpp v59, v11 quad_perm:[3,0,1,2] row_mask:0xf bank_mask:0xf
	s_waitcnt lgkmcnt(0)
	scratch_store_dwordx2 off, v[2:3], off offset:392
	ds_bpermute_b32 v2, v4, v20
	ds_bpermute_b32 v3, v4, v21
	v_mov_b32_dpp v8, v76 quad_perm:[3,0,1,2] row_mask:0xf bank_mask:0xf
	v_mov_b32_dpp v9, v77 quad_perm:[3,0,1,2] row_mask:0xf bank_mask:0xf
	;; [unrolled: 1-line block ×7, first 2 shown]
	scratch_load_dwordx4 v[90:93], off, off offset:360
	scratch_load_dwordx4 v[98:101], off, off offset:392
	s_waitcnt vmcnt(8)
	v_mov_b32_dpp v75, v57 quad_perm:[2,3,0,1] row_mask:0xf bank_mask:0xf
	s_waitcnt vmcnt(7)
	scratch_store_dwordx2 off, v[6:7], off offset:1088 ; 8-byte Folded Spill
	scratch_load_dwordx2 v[6:7], off, off offset:56
	s_waitcnt vmcnt(5)
	v_mov_b32_dpp v57, v83 quad_perm:[2,3,0,1] row_mask:0xf bank_mask:0xf
	s_waitcnt vmcnt(0)
	scratch_store_dwordx2 off, v[6:7], off offset:1072 ; 8-byte Folded Spill
	ds_bpermute_b32 v6, v4, v62
	ds_bpermute_b32 v7, v4, v63
	scratch_load_dwordx4 v[62:65], off, off offset:296
	s_waitcnt lgkmcnt(0)
	scratch_store_dwordx2 off, v[6:7], off offset:312
	scratch_load_dwordx4 v[66:69], off, off offset:312
	ds_bpermute_b32 v6, v4, v72
	ds_bpermute_b32 v7, v4, v73
	v_mov_b32_dpp v72, v54 quad_perm:[2,3,0,1] row_mask:0xf bank_mask:0xf
	v_mov_b32_dpp v73, v55 quad_perm:[2,3,0,1] row_mask:0xf bank_mask:0xf
	s_waitcnt lgkmcnt(0)
	scratch_store_dwordx2 off, v[6:7], off offset:344
	ds_bpermute_b32 v6, v4, v60
	ds_bpermute_b32 v7, v4, v61
	scratch_load_dwordx4 v[86:89], off, off offset:344
	v_mov_b32_dpp v60, v12 quad_perm:[3,0,1,2] row_mask:0xf bank_mask:0xf
	v_mov_b32_dpp v61, v13 quad_perm:[3,0,1,2] row_mask:0xf bank_mask:0xf
	s_waitcnt lgkmcnt(0)
	scratch_store_dwordx2 off, v[6:7], off offset:376
	ds_bpermute_b32 v6, v4, v52
	ds_bpermute_b32 v7, v4, v53
	scratch_load_dwordx4 v[94:97], off, off offset:376
	v_mov_b32_dpp v52, v110 quad_perm:[3,0,1,2] row_mask:0xf bank_mask:0xf
	v_mov_b32_dpp v53, v111 quad_perm:[3,0,1,2] row_mask:0xf bank_mask:0xf
	;; [unrolled: 1-line block ×3, first 2 shown]
	s_waitcnt lgkmcnt(0)
	scratch_store_dwordx2 off, v[6:7], off offset:408
	ds_bpermute_b32 v6, v4, v44
	ds_bpermute_b32 v7, v4, v45
	scratch_load_dwordx4 v[102:105], off, off offset:408
	s_nop 0
	scratch_store_dwordx2 v0, v[2:3], off
	s_waitcnt lgkmcnt(0)
	scratch_store_dwordx2 off, v[6:7], off offset:424
	scratch_load_dwordx2 v[2:3], off, off offset:16
	scratch_load_dwordx2 v[126:127], off, off
	ds_bpermute_b32 v6, v4, v34
	ds_bpermute_b32 v7, v4, v35
	ds_bpermute_b32 v0, v4, v36
	scratch_load_dwordx4 v[106:109], off, off offset:424
	v_mov_b32_dpp v44, v122 quad_perm:[3,0,1,2] row_mask:0xf bank_mask:0xf
	v_mov_b32_dpp v45, v123 quad_perm:[3,0,1,2] row_mask:0xf bank_mask:0xf
	v_mov_b32_dpp v111, v41 quad_perm:[2,3,0,1] row_mask:0xf bank_mask:0xf
	v_mov_b32_dpp v122, v92 quad_perm:[2,3,0,1] row_mask:0xf bank_mask:0xf
	v_mov_b32_dpp v123, v93 quad_perm:[2,3,0,1] row_mask:0xf bank_mask:0xf
	v_mov_b32_dpp v36, v74 quad_perm:[3,0,1,2] row_mask:0xf bank_mask:0xf
	v_mov_b32_dpp v74, v56 quad_perm:[2,3,0,1] row_mask:0xf bank_mask:0xf
	v_mov_b32_dpp v56, v82 quad_perm:[2,3,0,1] row_mask:0xf bank_mask:0xf
	v_mov_b32_dpp v40, v90 quad_perm:[2,3,0,1] row_mask:0xf bank_mask:0xf
	v_mov_b32_dpp v41, v91 quad_perm:[2,3,0,1] row_mask:0xf bank_mask:0xf
	v_mov_b32_dpp v34, v124 quad_perm:[3,0,1,2] row_mask:0xf bank_mask:0xf
	v_mov_b32_dpp v35, v125 quad_perm:[3,0,1,2] row_mask:0xf bank_mask:0xf
	s_waitcnt vmcnt(13)
	v_mov_b32_dpp v76, v62 quad_perm:[2,3,0,1] row_mask:0xf bank_mask:0xf
	v_mov_b32_dpp v77, v63 quad_perm:[2,3,0,1] row_mask:0xf bank_mask:0xf
	;; [unrolled: 1-line block ×4, first 2 shown]
	s_waitcnt vmcnt(11)
	v_mov_b32_dpp v54, v68 quad_perm:[2,3,0,1] row_mask:0xf bank_mask:0xf
	v_mov_b32_dpp v55, v69 quad_perm:[2,3,0,1] row_mask:0xf bank_mask:0xf
	;; [unrolled: 1-line block ×6, first 2 shown]
	s_waitcnt vmcnt(9)
	v_mov_b32_dpp v48, v86 quad_perm:[2,3,0,1] row_mask:0xf bank_mask:0xf
	v_mov_b32_dpp v49, v87 quad_perm:[2,3,0,1] row_mask:0xf bank_mask:0xf
	;; [unrolled: 1-line block ×4, first 2 shown]
	s_waitcnt vmcnt(7)
	v_mov_b32_dpp v124, v94 quad_perm:[2,3,0,1] row_mask:0xf bank_mask:0xf
	v_mov_b32_dpp v125, v95 quad_perm:[2,3,0,1] row_mask:0xf bank_mask:0xf
	;; [unrolled: 1-line block ×4, first 2 shown]
	s_waitcnt vmcnt(5)
	v_mov_b32_dpp v12, v104 quad_perm:[1,2,3,0] row_mask:0xf bank_mask:0xf
	v_mov_b32_dpp v13, v105 quad_perm:[1,2,3,0] row_mask:0xf bank_mask:0xf
	s_waitcnt vmcnt(2)
	scratch_store_dwordx2 off, v[2:3], off offset:1128 ; 8-byte Folded Spill
	ds_bpermute_b32 v2, v4, v42
	ds_bpermute_b32 v3, v4, v43
	s_waitcnt lgkmcnt(3)
	scratch_store_dwordx2 off, v[6:7], off offset:1056 ; 8-byte Folded Spill
	s_waitcnt lgkmcnt(2)
	scratch_store_dwordx2 off, v[0:1], off offset:440
	ds_bpermute_b32 v0, v4, v50
	ds_bpermute_b32 v1, v4, v51
	scratch_load_dwordx4 v[22:25], off, off offset:440
	v_mov_b32_dpp v42, v112 quad_perm:[3,0,1,2] row_mask:0xf bank_mask:0xf
	s_waitcnt lgkmcnt(2)
	scratch_store_dwordx2 off, v[2:3], off offset:456
	ds_bpermute_b32 v2, v4, v16
	ds_bpermute_b32 v3, v4, v17
	scratch_load_dwordx4 v[26:29], off, off offset:456
	scratch_load_dwordx2 v[32:33], off, off offset:72
	s_waitcnt lgkmcnt(0)
	scratch_store_dwordx2 off, v[2:3], off offset:1024 ; 8-byte Folded Spill
	scratch_store_dwordx2 off, v[0:1], off offset:472
	scratch_load_dwordx4 v[0:3], off, off offset:472
	s_nop 0
	scratch_load_dwordx2 v[30:31], off, off offset:488
	v_mov_b32_dpp v43, v113 quad_perm:[3,0,1,2] row_mask:0xf bank_mask:0xf
	scratch_store_dwordx4 off, v[8:11], off offset:1040 ; 16-byte Folded Spill
	v_mov_b32_dpp v112, v46 quad_perm:[2,3,0,1] row_mask:0xf bank_mask:0xf
	v_mov_b32_dpp v113, v47 quad_perm:[2,3,0,1] row_mask:0xf bank_mask:0xf
	;; [unrolled: 1-line block ×4, first 2 shown]
	scratch_load_dwordx2 v[86:87], off, off offset:88
	scratch_load_dwordx2 v[84:85], off, off offset:504
	v_mov_b32_dpp v8, v100 quad_perm:[1,2,3,0] row_mask:0xf bank_mask:0xf
	v_mov_b32_dpp v9, v101 quad_perm:[1,2,3,0] row_mask:0xf bank_mask:0xf
	;; [unrolled: 1-line block ×6, first 2 shown]
	s_waitcnt vmcnt(14)
	v_mov_b32_dpp v14, v106 quad_perm:[1,2,3,0] row_mask:0xf bank_mask:0xf
	v_mov_b32_dpp v15, v107 quad_perm:[1,2,3,0] row_mask:0xf bank_mask:0xf
	v_mov_b32_dpp v16, v108 quad_perm:[1,2,3,0] row_mask:0xf bank_mask:0xf
	v_mov_b32_dpp v17, v109 quad_perm:[1,2,3,0] row_mask:0xf bank_mask:0xf
	s_waitcnt vmcnt(10)
	v_mov_b32_dpp v20, v24 quad_perm:[1,2,3,0] row_mask:0xf bank_mask:0xf
	v_mov_b32_dpp v18, v22 quad_perm:[1,2,3,0] row_mask:0xf bank_mask:0xf
	v_mov_b32_dpp v19, v23 quad_perm:[1,2,3,0] row_mask:0xf bank_mask:0xf
	v_mov_b32_dpp v21, v25 quad_perm:[1,2,3,0] row_mask:0xf bank_mask:0xf
	;; [unrolled: 5-line block ×3, first 2 shown]
	s_waitcnt vmcnt(4)
	v_mov_b32_dpp v28, v2 quad_perm:[1,2,3,0] row_mask:0xf bank_mask:0xf
	v_add_u32_e32 v2, -1, v5
	v_mov_b32_dpp v26, v0 quad_perm:[1,2,3,0] row_mask:0xf bank_mask:0xf
	v_and_b32_e32 v0, 3, v5
	v_and_b32_e32 v2, 3, v2
	v_mov_b32_dpp v27, v1 quad_perm:[1,2,3,0] row_mask:0xf bank_mask:0xf
	v_lshlrev_b32_e32 v1, 3, v0
	v_lshlrev_b32_e32 v104, 3, v2
	v_mov_b32_dpp v29, v3 quad_perm:[1,2,3,0] row_mask:0xf bank_mask:0xf
	scratch_store_dwordx2 v1, v[126:127], off offset:512
	scratch_store_dwordx4 off, v[118:121], off offset:128
	scratch_store_dwordx2 v1, v[6:7], off offset:544
	scratch_store_dwordx2 v104, v[118:119], off offset:512
	;; [unrolled: 1-line block ×3, first 2 shown]
	s_waitcnt vmcnt(8)
	ds_bpermute_b32 v2, v4, v30
	ds_bpermute_b32 v3, v4, v31
	scratch_load_dwordx2 v[6:7], off, off offset:1108 ; 8-byte Folded Reload
	v_xor_b32_e32 v0, 2, v0
	scratch_load_dwordx2 v[88:89], off, off offset:104
	scratch_load_dwordx2 v[92:93], off, off offset:32
	ds_bpermute_b32 v126, v4, v32
	s_waitcnt lgkmcnt(1)
	scratch_store_dwordx2 off, v[2:3], off offset:488
	scratch_load_dwordx2 v[2:3], off, off offset:1128 ; 8-byte Folded Reload
	ds_bpermute_b32 v127, v4, v33
	scratch_load_dwordx4 v[98:101], off, off offset:488
	s_waitcnt vmcnt(12)
	ds_bpermute_b32 v86, v4, v86
	ds_bpermute_b32 v87, v4, v87
	s_waitcnt vmcnt(5)
	ds_bpermute_b32 v118, v4, v6
	ds_bpermute_b32 v119, v4, v7
	;; [unrolled: 3-line block ×3, first 2 shown]
	s_waitcnt vmcnt(1)
	scratch_store_dwordx2 v1, v[2:3], off offset:576
	scratch_store_dwordx4 off, v[114:117], off offset:144
	s_waitcnt lgkmcnt(2)
	scratch_store_dwordx2 v1, v[118:119], off offset:608
	scratch_store_dwordx2 v104, v[114:115], off offset:576
	;; [unrolled: 1-line block ×3, first 2 shown]
	v_lshlrev_b32_e32 v2, 3, v0
	scratch_load_dwordx2 v[102:103], off, off offset:48
	scratch_load_dwordx2 v[82:83], off, off offset:64
	v_add_u32_e32 v3, 3, v0
	scratch_store_dwordx4 off, v[110:113], off offset:256
	scratch_store_dwordx2 v2, v[110:111], off offset:512
	scratch_store_dwordx2 v2, v[112:113], off offset:544
	scratch_load_dwordx2 v[90:91], off, off offset:80
	scratch_load_dwordx2 v[6:7], off, off offset:1088 ; 8-byte Folded Reload
	scratch_load_dwordx2 v[32:33], off, off offset:96
	scratch_load_dwordx2 v[88:89], off, off offset:112
	v_and_b32_e32 v0, 3, v3
	v_lshlrev_b32_e32 v0, 3, v0
	v_lshlrev_b32_e32 v3, 3, v3
	s_waitcnt vmcnt(14)
	v_mov_b32_dpp v30, v98 quad_perm:[1,2,3,0] row_mask:0xf bank_mask:0xf
	v_mov_b32_dpp v31, v99 quad_perm:[1,2,3,0] row_mask:0xf bank_mask:0xf
	;; [unrolled: 1-line block ×3, first 2 shown]
	s_waitcnt vmcnt(2)
	ds_bpermute_b32 v116, v4, v6
	ds_bpermute_b32 v117, v4, v7
	scratch_load_dwordx2 v[6:7], off, off offset:1072 ; 8-byte Folded Reload
	s_waitcnt vmcnt(0)
	ds_bpermute_b32 v120, v4, v6
	ds_bpermute_b32 v121, v4, v7
	ds_bpermute_b32 v6, v4, v84
	ds_bpermute_b32 v7, v4, v85
	v_or_b32_e32 v4, 32, v3
	s_waitcnt lgkmcnt(0)
	scratch_store_dwordx2 off, v[6:7], off offset:504
	scratch_store_dwordx4 off, v[78:81], off offset:160
	scratch_store_dwordx4 off, v[58:61], off offset:176
	;; [unrolled: 1-line block ×12, first 2 shown]
	scratch_store_dwordx2 v1, v[92:93], off offset:640
	scratch_store_dwordx2 v0, v[66:67], off offset:512
	scratch_load_dwordx2 v[96:97], off, off offset:504
	s_nop 0
	scratch_store_dwordx2 v1, v[102:103], off offset:704
	scratch_store_dwordx2 v4, v[68:69], off offset:512
	scratch_load_dwordx4 v[66:69], off, off offset:520
	s_nop 0
	scratch_store_dwordx2 v2, v[70:71], off offset:576
	scratch_store_dwordx2 v2, v[72:73], off offset:608
	scratch_load_dwordx4 v[70:73], off, off offset:552
	s_nop 0
	scratch_store_dwordx2 v0, v[8:9], off offset:576
	scratch_store_dwordx2 v1, v[116:117], off offset:672
	;; [unrolled: 1-line block ×4, first 2 shown]
	v_or_b32_e32 v4, 0x60, v3
	scratch_load_dwordx4 v[78:81], off, off offset:584
	s_waitcnt vmcnt(11)
	v_mov_b32_dpp v6, v96 quad_perm:[1,2,3,0] row_mask:0xf bank_mask:0xf
	scratch_store_dwordx2 v1, v[120:121], off offset:736
	scratch_store_dwordx2 v4, v[10:11], off offset:512
	;; [unrolled: 1-line block ×3, first 2 shown]
	scratch_load_dwordx4 v[82:85], off, off offset:616
	s_nop 0
	scratch_store_dwordx2 v2, v[74:75], off offset:640
	scratch_store_dwordx2 v0, v[12:13], off offset:640
	;; [unrolled: 1-line block ×3, first 2 shown]
	v_or_b32_e32 v4, 0xa0, v3
	scratch_store_dwordx2 v4, v[14:15], off offset:512
	scratch_load_dwordx4 v[74:77], off, off offset:648
	s_nop 0
	scratch_store_dwordx2 v104, v[58:59], off offset:704
	scratch_store_dwordx2 v104, v[60:61], off offset:736
	scratch_load_dwordx4 v[58:61], off, off offset:680
	s_nop 0
	scratch_store_dwordx2 v1, v[126:127], off offset:800
	scratch_store_dwordx2 v2, v[62:63], off offset:704
	;; [unrolled: 1-line block ×4, first 2 shown]
	v_or_b32_e32 v4, 0xe0, v3
	scratch_store_dwordx2 v4, v[18:19], off offset:512
	scratch_load_dwordx4 v[62:65], off, off offset:712
	s_nop 0
	scratch_store_dwordx2 v104, v[50:51], off offset:768
	scratch_store_dwordx2 v104, v[52:53], off offset:800
	scratch_load_dwordx4 v[50:53], off, off offset:744
	s_nop 0
	scratch_store_dwordx2 v1, v[90:91], off offset:832
	scratch_store_dwordx2 v2, v[54:55], off offset:768
	;; [unrolled: 1-line block ×4, first 2 shown]
	v_or_b32_e32 v4, 0x120, v3
	scratch_load_dwordx4 v[54:57], off, off offset:776
	s_nop 0
	scratch_store_dwordx2 v4, v[22:23], off offset:512
	scratch_store_dwordx2 v1, v[86:87], off offset:864
	;; [unrolled: 1-line block ×4, first 2 shown]
	scratch_load_dwordx4 v[42:45], off, off offset:808
	s_nop 0
	scratch_store_dwordx2 v2, v[46:47], off offset:832
	scratch_store_dwordx2 v0, v[24:25], off offset:832
	;; [unrolled: 1-line block ×3, first 2 shown]
	v_or_b32_e32 v4, 0x160, v3
	scratch_load_dwordx4 v[46:49], off, off offset:840
	s_nop 0
	scratch_store_dwordx2 v4, v[26:27], off offset:512
	scratch_store_dwordx2 v1, v[32:33], off offset:896
	v_or_b32_e32 v4, 0x1a0, v3
	scratch_load_dwordx4 v[90:93], off, off offset:872
	s_nop 0
	scratch_store_dwordx2 v104, v[34:35], off offset:896
	scratch_store_dwordx2 v2, v[38:39], off offset:896
	;; [unrolled: 1-line block ×7, first 2 shown]
	scratch_load_dwordx4 v[112:115], off, off offset:904
	s_nop 0
	scratch_load_dwordx4 v[38:41], off, off offset:936
	scratch_load_dwordx4 v[32:35], off, off offset:1040 ; 16-byte Folded Reload
	v_mov_b32_dpp v4, v100 quad_perm:[1,2,3,0] row_mask:0xf bank_mask:0xf
	v_mov_b32_dpp v7, v97 quad_perm:[1,2,3,0] row_mask:0xf bank_mask:0xf
	s_waitcnt vmcnt(0)
	scratch_store_dwordx4 off, v[32:35], off offset:240
	scratch_store_dwordx4 off, v[122:125], off offset:368
	;; [unrolled: 1-line block ×9, first 2 shown]
	scratch_store_dwordx2 v1, v[88:89], off offset:960
	scratch_load_dwordx2 v[16:17], off, off offset:1024 ; 8-byte Folded Reload
	s_waitcnt vmcnt(0)
	scratch_store_dwordx2 v1, v[16:17], off offset:992
	scratch_store_dwordx2 v104, v[32:33], off offset:960
	;; [unrolled: 1-line block ×6, first 2 shown]
	v_or_b32_e32 v0, 0x1e0, v3
	scratch_load_dwordx4 v[2:5], off, off offset:968
	v_mov_b32_dpp v98, v84 quad_perm:[2,3,0,1] row_mask:0xf bank_mask:0xf
	scratch_store_dwordx2 v0, v[6:7], off offset:512
	scratch_load_dwordx2 v[6:7], off, off offset:1056 ; 8-byte Folded Reload
	v_mov_b32_dpp v99, v85 quad_perm:[2,3,0,1] row_mask:0xf bank_mask:0xf
	v_mov_b32_dpp v110, v68 quad_perm:[2,3,0,1] row_mask:0xf bank_mask:0xf
	;; [unrolled: 1-line block ×55, first 2 shown]
	s_waitcnt vmcnt(2)
	v_mov_b32_dpp v10, v2 quad_perm:[1,2,3,0] row_mask:0xf bank_mask:0xf
	v_mov_b32_dpp v11, v3 quad_perm:[1,2,3,0] row_mask:0xf bank_mask:0xf
	;; [unrolled: 1-line block ×4, first 2 shown]
	scratch_load_dwordx4 v[2:5], off, off offset:1000
	s_waitcnt vmcnt(1)
	scratch_store_dwordx2 off, v[6:7], off offset:8
	scratch_store_dwordx2 off, v[118:119], off offset:24
	;; [unrolled: 1-line block ×6, first 2 shown]
	scratch_load_dwordx2 v[68:69], off, off offset:640
	scratch_load_dwordx2 v[64:65], off, off offset:704
	;; [unrolled: 1-line block ×4, first 2 shown]
	s_waitcnt vmcnt(10)
	v_mov_b32_dpp v2, v2 quad_perm:[1,2,3,0] row_mask:0xf bank_mask:0xf
	v_mov_b32_dpp v3, v3 quad_perm:[1,2,3,0] row_mask:0xf bank_mask:0xf
	v_mov_b64_e32 v[18:19], v[2:3]
	scratch_load_dwordx2 v[2:3], off, off offset:536
	v_mov_b32_dpp v4, v4 quad_perm:[2,3,0,1] row_mask:0xf bank_mask:0xf
	scratch_store_dwordx2 off, v[94:95], off offset:104
	scratch_store_dwordx2 off, v[16:17], off offset:120
	s_waitcnt vmcnt(6)
	scratch_store_dwordx4 off, v[68:71], off offset:1088 ; 16-byte Folded Spill
	s_waitcnt vmcnt(6)
	scratch_store_dwordx4 off, v[64:67], off offset:1072 ; 16-byte Folded Spill
	;; [unrolled: 2-line block ×3, first 2 shown]
	v_mov_b32_dpp v5, v5 quad_perm:[2,3,0,1] row_mask:0xf bank_mask:0xf
	s_waitcnt vmcnt(6)
	v_mov_b32_dpp v62, v6 quad_perm:[3,0,1,2] row_mask:0xf bank_mask:0xf
	v_mov_b32_dpp v63, v7 quad_perm:[3,0,1,2] row_mask:0xf bank_mask:0xf
	scratch_load_dwordx2 v[6:7], off, off offset:824
	v_mov_b64_e32 v[34:35], v[8:9]
	s_waitcnt vmcnt(6)
	v_mov_b32_dpp v122, v2 quad_perm:[3,0,1,2] row_mask:0xf bank_mask:0xf
	v_mov_b32_dpp v123, v3 quad_perm:[3,0,1,2] row_mask:0xf bank_mask:0xf
	scratch_load_dwordx2 v[2:3], off, off offset:568
	s_waitcnt vmcnt(1)
	v_mov_b32_dpp v54, v6 quad_perm:[3,0,1,2] row_mask:0xf bank_mask:0xf
	v_mov_b32_dpp v55, v7 quad_perm:[3,0,1,2] row_mask:0xf bank_mask:0xf
	scratch_load_dwordx2 v[6:7], off, off offset:856
	s_waitcnt vmcnt(1)
	v_mov_b32_dpp v118, v2 quad_perm:[3,0,1,2] row_mask:0xf bank_mask:0xf
	v_mov_b32_dpp v119, v3 quad_perm:[3,0,1,2] row_mask:0xf bank_mask:0xf
	scratch_load_dwordx2 v[2:3], off, off offset:600
	s_waitcnt vmcnt(1)
	v_mov_b32_dpp v46, v6 quad_perm:[3,0,1,2] row_mask:0xf bank_mask:0xf
	v_mov_b32_dpp v47, v7 quad_perm:[3,0,1,2] row_mask:0xf bank_mask:0xf
	scratch_load_dwordx2 v[6:7], off, off offset:888
	s_waitcnt vmcnt(1)
	v_mov_b32_dpp v112, v2 quad_perm:[3,0,1,2] row_mask:0xf bank_mask:0xf
	v_mov_b32_dpp v113, v3 quad_perm:[3,0,1,2] row_mask:0xf bank_mask:0xf
	scratch_load_dwordx2 v[2:3], off, off offset:632
	s_waitcnt vmcnt(1)
	v_mov_b32_dpp v38, v6 quad_perm:[3,0,1,2] row_mask:0xf bank_mask:0xf
	v_mov_b32_dpp v39, v7 quad_perm:[3,0,1,2] row_mask:0xf bank_mask:0xf
	scratch_load_dwordx2 v[6:7], off, off offset:920
	s_waitcnt vmcnt(1)
	v_mov_b32_dpp v114, v2 quad_perm:[3,0,1,2] row_mask:0xf bank_mask:0xf
	v_mov_b32_dpp v115, v3 quad_perm:[3,0,1,2] row_mask:0xf bank_mask:0xf
	scratch_load_dwordx2 v[2:3], off, off offset:664
	s_waitcnt vmcnt(1)
	v_mov_b32_dpp v30, v6 quad_perm:[3,0,1,2] row_mask:0xf bank_mask:0xf
	v_mov_b32_dpp v31, v7 quad_perm:[3,0,1,2] row_mask:0xf bank_mask:0xf
	scratch_load_dwordx2 v[6:7], off, off offset:952
	s_waitcnt vmcnt(1)
	v_mov_b32_dpp v90, v2 quad_perm:[3,0,1,2] row_mask:0xf bank_mask:0xf
	v_mov_b32_dpp v91, v3 quad_perm:[3,0,1,2] row_mask:0xf bank_mask:0xf
	scratch_load_dwordx2 v[2:3], off, off offset:696
	s_waitcnt vmcnt(1)
	v_mov_b32_dpp v22, v6 quad_perm:[3,0,1,2] row_mask:0xf bank_mask:0xf
	v_mov_b32_dpp v23, v7 quad_perm:[3,0,1,2] row_mask:0xf bank_mask:0xf
	scratch_load_dwordx2 v[6:7], off, off offset:984
	s_waitcnt vmcnt(1)
	v_mov_b32_dpp v82, v2 quad_perm:[3,0,1,2] row_mask:0xf bank_mask:0xf
	v_mov_b32_dpp v83, v3 quad_perm:[3,0,1,2] row_mask:0xf bank_mask:0xf
	scratch_load_dwordx2 v[2:3], off, off offset:728
	s_waitcnt vmcnt(1)
	v_mov_b32_dpp v86, v6 quad_perm:[3,0,1,2] row_mask:0xf bank_mask:0xf
	v_mov_b32_dpp v87, v7 quad_perm:[3,0,1,2] row_mask:0xf bank_mask:0xf
	scratch_load_dwordx2 v[6:7], off, off offset:1016
	s_waitcnt vmcnt(1)
	v_mov_b32_dpp v74, v2 quad_perm:[3,0,1,2] row_mask:0xf bank_mask:0xf
	v_mov_b32_dpp v75, v3 quad_perm:[3,0,1,2] row_mask:0xf bank_mask:0xf
	scratch_load_dwordx2 v[2:3], off, off offset:760
	scratch_load_dwordx2 v[56:57], off, off offset:832
	scratch_load_dwordx2 v[40:41], off, off offset:896
	;; [unrolled: 1-line block ×3, first 2 shown]
	s_waitcnt vmcnt(4)
	v_mov_b32_dpp v6, v6 quad_perm:[3,0,1,2] row_mask:0xf bank_mask:0xf
	v_mov_b32_dpp v7, v7 quad_perm:[3,0,1,2] row_mask:0xf bank_mask:0xf
	s_waitcnt vmcnt(3)
	v_mov_b32_dpp v2, v2 quad_perm:[3,0,1,2] row_mask:0xf bank_mask:0xf
	s_waitcnt vmcnt(0)
	v_mov_b64_e32 v[94:95], v[10:11]
	v_mov_b32_dpp v3, v3 quad_perm:[3,0,1,2] row_mask:0xf bank_mask:0xf
	v_mov_b64_e32 v[92:93], v[8:9]
	scratch_load_dwordx2 v[10:11], off, off offset:672
	s_waitcnt vmcnt(0)
	v_mov_b64_e32 v[70:71], v[12:13]
	v_mov_b64_e32 v[68:69], v[10:11]
	scratch_load_dwordx2 v[32:33], off, off offset:736
	scratch_load_dwordx2 v[76:77], off, off offset:800
	;; [unrolled: 1-line block ×5, first 2 shown]
	s_waitcnt vmcnt(0)
	v_mov_b64_e32 v[50:51], v[18:19]
	scratch_store_dwordx4 off, v[24:27], off offset:1040 ; 16-byte Folded Spill
	scratch_store_dwordx4 off, v[108:111], off offset:520
	scratch_store_dwordx2 off, v[122:123], off offset:536
	scratch_store_dwordx4 off, v[104:107], off offset:552
	scratch_store_dwordx2 off, v[118:119], off offset:568
	;; [unrolled: 2-line block ×4, first 2 shown]
	v_mov_b64_e32 v[48:49], v[16:17]
	scratch_load_dwordx2 v[8:9], off, off offset:512
	scratch_load_dwordx2 v[124:125], off, off offset:576
	;; [unrolled: 1-line block ×4, first 2 shown]
.LBB1_4:
	scratch_load_dword v10, off, off offset:1104 ; 4-byte Folded Reload
	v_mov_b32_e32 v11, v109
	v_mov_b32_e32 v120, v110
	;; [unrolled: 1-line block ×13, first 2 shown]
	s_waitcnt vmcnt(0)
	v_lshlrev_b32_e32 v64, 3, v10
	v_mov_b32_e32 v10, v108
	global_store_dwordx4 v64, v[8:11], s[6:7]
	scratch_load_dwordx4 v[8:11], off, off offset:1088 ; 16-byte Folded Reload
	s_nop 0
	global_store_dwordx4 v64, v[110:113], s[6:7] offset:80
	global_store_dwordx4 v64, v[120:123], s[6:7] offset:16
	;; [unrolled: 1-line block ×3, first 2 shown]
	v_mov_b32_e32 v112, v98
	v_mov_b32_e32 v113, v99
	global_store_dwordx4 v64, v[116:119], s[6:7] offset:48
	global_store_dwordx4 v64, v[124:127], s[6:7] offset:64
	;; [unrolled: 1-line block ×4, first 2 shown]
	s_waitcnt vmcnt(7)
	global_store_dwordx4 v64, v[8:11], s[6:7] offset:128
	global_store_dwordx4 v64, v[88:91], s[6:7] offset:144
	;; [unrolled: 1-line block ×4, first 2 shown]
	scratch_load_dwordx4 v[8:11], off, off offset:1072 ; 16-byte Folded Reload
	s_waitcnt vmcnt(0)
	global_store_dwordx4 v64, v[8:11], s[6:7] offset:192
	global_store_dwordx4 v64, v[72:75], s[6:7] offset:208
	;; [unrolled: 1-line block ×4, first 2 shown]
	scratch_load_dwordx4 v[0:3], off, off offset:1056 ; 16-byte Folded Reload
	s_waitcnt vmcnt(0)
	global_store_dwordx4 v64, v[0:3], s[6:7] offset:256
	global_store_dwordx4 v64, v[60:63], s[6:7] offset:272
	;; [unrolled: 1-line block ×10, first 2 shown]
	scratch_load_dwordx4 v[0:3], off, off offset:1040 ; 16-byte Folded Reload
	s_waitcnt vmcnt(0)
	global_store_dwordx4 v64, v[0:3], s[6:7] offset:416
	global_store_dwordx4 v64, v[20:23], s[6:7] offset:432
	;; [unrolled: 1-line block ×6, first 2 shown]
	s_endpgm
	.section	.rodata,"a",@progbits
	.p2align	6, 0x0
	.amdhsa_kernel _Z20warp_exchange_kernelILj64ELj8EN6common25StripedToBlockedShuffleOpElEvPT2_S3_b
		.amdhsa_group_segment_fixed_size 0
		.amdhsa_private_segment_fixed_size 1648
		.amdhsa_kernarg_size 20
		.amdhsa_user_sgpr_count 2
		.amdhsa_user_sgpr_dispatch_ptr 0
		.amdhsa_user_sgpr_queue_ptr 0
		.amdhsa_user_sgpr_kernarg_segment_ptr 1
		.amdhsa_user_sgpr_dispatch_id 0
		.amdhsa_user_sgpr_kernarg_preload_length 0
		.amdhsa_user_sgpr_kernarg_preload_offset 0
		.amdhsa_user_sgpr_private_segment_size 0
		.amdhsa_uses_dynamic_stack 0
		.amdhsa_enable_private_segment 1
		.amdhsa_system_sgpr_workgroup_id_x 1
		.amdhsa_system_sgpr_workgroup_id_y 0
		.amdhsa_system_sgpr_workgroup_id_z 0
		.amdhsa_system_sgpr_workgroup_info 0
		.amdhsa_system_vgpr_workitem_id 0
		.amdhsa_next_free_vgpr 128
		.amdhsa_next_free_sgpr 8
		.amdhsa_accum_offset 128
		.amdhsa_reserve_vcc 0
		.amdhsa_float_round_mode_32 0
		.amdhsa_float_round_mode_16_64 0
		.amdhsa_float_denorm_mode_32 3
		.amdhsa_float_denorm_mode_16_64 3
		.amdhsa_dx10_clamp 1
		.amdhsa_ieee_mode 1
		.amdhsa_fp16_overflow 0
		.amdhsa_tg_split 0
		.amdhsa_exception_fp_ieee_invalid_op 0
		.amdhsa_exception_fp_denorm_src 0
		.amdhsa_exception_fp_ieee_div_zero 0
		.amdhsa_exception_fp_ieee_overflow 0
		.amdhsa_exception_fp_ieee_underflow 0
		.amdhsa_exception_fp_ieee_inexact 0
		.amdhsa_exception_int_div_zero 0
	.end_amdhsa_kernel
	.section	.text._Z20warp_exchange_kernelILj64ELj8EN6common25StripedToBlockedShuffleOpElEvPT2_S3_b,"axG",@progbits,_Z20warp_exchange_kernelILj64ELj8EN6common25StripedToBlockedShuffleOpElEvPT2_S3_b,comdat
.Lfunc_end1:
	.size	_Z20warp_exchange_kernelILj64ELj8EN6common25StripedToBlockedShuffleOpElEvPT2_S3_b, .Lfunc_end1-_Z20warp_exchange_kernelILj64ELj8EN6common25StripedToBlockedShuffleOpElEvPT2_S3_b
                                        ; -- End function
	.section	.AMDGPU.csdata,"",@progbits
; Kernel info:
; codeLenInByte = 13952
; NumSgprs: 14
; NumVgprs: 128
; NumAgprs: 0
; TotalNumVgprs: 128
; ScratchSize: 1648
; MemoryBound: 1
; FloatMode: 240
; IeeeMode: 1
; LDSByteSize: 0 bytes/workgroup (compile time only)
; SGPRBlocks: 1
; VGPRBlocks: 15
; NumSGPRsForWavesPerEU: 14
; NumVGPRsForWavesPerEU: 128
; AccumOffset: 128
; Occupancy: 4
; WaveLimiterHint : 1
; COMPUTE_PGM_RSRC2:SCRATCH_EN: 1
; COMPUTE_PGM_RSRC2:USER_SGPR: 2
; COMPUTE_PGM_RSRC2:TRAP_HANDLER: 0
; COMPUTE_PGM_RSRC2:TGID_X_EN: 1
; COMPUTE_PGM_RSRC2:TGID_Y_EN: 0
; COMPUTE_PGM_RSRC2:TGID_Z_EN: 0
; COMPUTE_PGM_RSRC2:TIDIG_COMP_CNT: 0
; COMPUTE_PGM_RSRC3_GFX90A:ACCUM_OFFSET: 31
; COMPUTE_PGM_RSRC3_GFX90A:TG_SPLIT: 0
	.section	.text._Z20warp_exchange_kernelILj32ELj8EN6common25StripedToBlockedShuffleOpEiEvPT2_S3_b,"axG",@progbits,_Z20warp_exchange_kernelILj32ELj8EN6common25StripedToBlockedShuffleOpEiEvPT2_S3_b,comdat
	.protected	_Z20warp_exchange_kernelILj32ELj8EN6common25StripedToBlockedShuffleOpEiEvPT2_S3_b ; -- Begin function _Z20warp_exchange_kernelILj32ELj8EN6common25StripedToBlockedShuffleOpEiEvPT2_S3_b
	.globl	_Z20warp_exchange_kernelILj32ELj8EN6common25StripedToBlockedShuffleOpEiEvPT2_S3_b
	.p2align	8
	.type	_Z20warp_exchange_kernelILj32ELj8EN6common25StripedToBlockedShuffleOpEiEvPT2_S3_b,@function
_Z20warp_exchange_kernelILj32ELj8EN6common25StripedToBlockedShuffleOpEiEvPT2_S3_b: ; @_Z20warp_exchange_kernelILj32ELj8EN6common25StripedToBlockedShuffleOpEiEvPT2_S3_b
; %bb.0:
	s_load_dwordx4 s[4:7], s[0:1], 0x0
	s_load_dword s2, s[0:1], 0x10
	v_lshlrev_b32_e32 v1, 7, v0
	v_lshlrev_b32_e32 v0, 5, v0
	s_waitcnt lgkmcnt(0)
	global_load_dwordx4 v[6:9], v1, s[4:5] offset:48
	global_load_dwordx4 v[10:13], v1, s[4:5] offset:32
	;; [unrolled: 1-line block ×3, first 2 shown]
	global_load_dwordx4 v[18:21], v1, s[4:5]
	global_load_dwordx4 v[2:5], v1, s[4:5] offset:112
	global_load_dwordx4 v[22:25], v1, s[4:5] offset:96
	;; [unrolled: 1-line block ×4, first 2 shown]
	v_mbcnt_lo_u32_b32 v1, -1, 0
	s_bitcmp0_b32 s2, 0
	v_mbcnt_hi_u32_b32 v1, -1, v1
	s_cbranch_scc0 .LBB2_2
; %bb.1:
	v_lshlrev_b32_e32 v34, 2, v1
	v_xor_b32_e32 v58, 16, v34
	s_waitcnt vmcnt(0)
	ds_bpermute_b32 v34, v58, v30
	v_bfe_u32 v59, v1, 2, 1
	v_lshlrev_b32_e32 v49, 2, v59
	ds_bpermute_b32 v35, v58, v31
	v_or_b32_e32 v51, 0, v49
	scratch_store_dwordx4 off, v[18:21], off
	scratch_store_dwordx4 off, v[14:17], off offset:16
	scratch_store_dwordx4 off, v[10:13], off offset:32
	;; [unrolled: 1-line block ×7, first 2 shown]
	v_mov_b32_e32 v50, 0
	scratch_store_dword v51, v18, off
	scratch_store_dword v51, v19, off offset:8
	scratch_store_dword v51, v20, off offset:16
	;; [unrolled: 1-line block ×15, first 2 shown]
	v_xor_b32_e32 v51, 1, v59
	ds_bpermute_b32 v36, v58, v32
	ds_bpermute_b32 v37, v58, v33
	v_lshl_or_b32 v51, v51, 2, v50
	ds_bpermute_b32 v38, v58, v26
	s_waitcnt lgkmcnt(4)
	scratch_store_dword v51, v34, off
	v_xor_b32_e32 v34, 3, v59
	ds_bpermute_b32 v39, v58, v27
	ds_bpermute_b32 v41, v58, v29
	v_lshl_or_b32 v34, v34, 2, v50
	ds_bpermute_b32 v40, v58, v28
	ds_bpermute_b32 v42, v58, v22
	s_waitcnt lgkmcnt(7)
	scratch_store_dword v34, v35, off
	v_xor_b32_e32 v35, 7, v59
	ds_bpermute_b32 v43, v58, v23
	v_sub_u32_e32 v34, 0, v49
	v_lshlrev_b32_e32 v35, 2, v35
	ds_bpermute_b32 v44, v58, v24
	s_waitcnt lgkmcnt(8)
	scratch_store_dword v34, v36, off offset:20
	s_waitcnt lgkmcnt(7)
	scratch_store_dword v35, v37, off
	s_waitcnt lgkmcnt(6)
	scratch_store_dword v34, v38, off offset:36
	s_waitcnt lgkmcnt(5)
	scratch_store_dword v34, v39, off offset:44
	;; [unrolled: 2-line block ×3, first 2 shown]
	v_xor_b32_e32 v35, 15, v59
	ds_bpermute_b32 v45, v58, v25
	v_lshlrev_b32_e32 v35, 2, v35
	ds_bpermute_b32 v46, v58, v2
	ds_bpermute_b32 v47, v58, v3
	;; [unrolled: 1-line block ×3, first 2 shown]
	scratch_store_dword v35, v41, off
	s_waitcnt lgkmcnt(6)
	scratch_store_dword v34, v42, off offset:68
	s_waitcnt lgkmcnt(5)
	scratch_store_dword v34, v43, off offset:76
	;; [unrolled: 2-line block ×7, first 2 shown]
	scratch_load_dwordx4 v[38:41], off, off
	scratch_load_dwordx4 v[42:45], off, off offset:32
	s_nop 0
	scratch_load_dwordx4 v[46:49], off, off offset:48
	scratch_load_dwordx4 v[50:53], off, off offset:64
	;; [unrolled: 1-line block ×3, first 2 shown]
	ds_bpermute_b32 v34, v58, v5
	v_xor_b32_e32 v35, 31, v59
	v_lshlrev_b32_e32 v35, 2, v35
	v_mov_b32_e32 v66, 0x80
	s_waitcnt lgkmcnt(0)
	scratch_store_dword v35, v34, off
	scratch_load_dwordx4 v[34:37], off, off offset:16
	s_waitcnt vmcnt(6)
	ds_bpermute_b32 v59, v58, v39
	s_waitcnt vmcnt(5)
	ds_bpermute_b32 v61, v58, v43
	s_waitcnt vmcnt(4)
	v_mov_b32_dpp v65, v48 quad_perm:[3,0,1,2] row_mask:0xf bank_mask:0xf
	s_waitcnt vmcnt(3)
	v_mov_b32_dpp v48, v50 quad_perm:[2,3,0,1] row_mask:0xf bank_mask:0xf
	v_mov_b32_dpp v50, v52 quad_perm:[2,3,0,1] row_mask:0xf bank_mask:0xf
	s_waitcnt vmcnt(2)
	v_mov_b32_dpp v52, v54 quad_perm:[2,3,0,1] row_mask:0xf bank_mask:0xf
	v_mov_b32_dpp v54, v56 quad_perm:[2,3,0,1] row_mask:0xf bank_mask:0xf
	v_and_b32_e32 v56, 3, v1
	ds_bpermute_b32 v62, v58, v45
	v_mov_b32_dpp v63, v42 quad_perm:[3,0,1,2] row_mask:0xf bank_mask:0xf
	v_mov_b32_dpp v64, v44 quad_perm:[3,0,1,2] row_mask:0xf bank_mask:0xf
	scratch_load_dwordx4 v[42:45], off, off offset:96
	v_lshl_or_b32 v69, v56, 2, v66
	scratch_store_dword v69, v38, off
	scratch_store_dword v69, v40, off offset:32
	ds_bpermute_b32 v60, v58, v41
	scratch_load_dwordx4 v[38:41], off, off offset:112
	s_waitcnt vmcnt(4)
	ds_bpermute_b32 v35, v58, v35
	s_waitcnt lgkmcnt(4)
	scratch_store_dword v69, v59, off offset:16
	s_waitcnt lgkmcnt(1)
	scratch_store_dword v69, v60, off offset:48
	scratch_store_dword v69, v34, off offset:64
	s_waitcnt lgkmcnt(0)
	scratch_store_dword v69, v35, off offset:80
	scratch_store_dword v69, v36, off offset:96
	v_add_u32_e32 v34, -1, v1
	ds_bpermute_b32 v47, v58, v47
	ds_bpermute_b32 v51, v58, v51
	v_and_b32_e32 v34, 3, v34
	ds_bpermute_b32 v53, v58, v53
	ds_bpermute_b32 v55, v58, v55
	v_lshl_or_b32 v59, v34, 2, v66
	v_xor_b32_e32 v34, 2, v56
	v_lshl_or_b32 v56, v34, 2, v66
	ds_bpermute_b32 v49, v58, v49
	ds_bpermute_b32 v57, v58, v57
	v_mov_b32_dpp v46, v46 quad_perm:[3,0,1,2] row_mask:0xf bank_mask:0xf
	ds_bpermute_b32 v37, v58, v37
	s_waitcnt vmcnt(8)
	ds_bpermute_b32 v43, v58, v43
	ds_bpermute_b32 v45, v58, v45
	v_mov_b32_dpp v42, v42 quad_perm:[1,2,3,0] row_mask:0xf bank_mask:0xf
	v_mov_b32_dpp v44, v44 quad_perm:[1,2,3,0] row_mask:0xf bank_mask:0xf
	s_waitcnt vmcnt(5)
	ds_bpermute_b32 v39, v58, v39
	v_mov_b32_dpp v67, v38 quad_perm:[1,2,3,0] row_mask:0xf bank_mask:0xf
	v_mov_b32_dpp v38, v61 quad_perm:[3,0,1,2] row_mask:0xf bank_mask:0xf
	v_mov_b32_dpp v73, v40 quad_perm:[1,2,3,0] row_mask:0xf bank_mask:0xf
	v_mov_b32_dpp v40, v62 quad_perm:[3,0,1,2] row_mask:0xf bank_mask:0xf
	scratch_store_dword v59, v63, off
	scratch_store_dword v59, v38, off offset:16
	scratch_store_dword v59, v64, off offset:32
	scratch_store_dword v59, v40, off offset:48
	v_add_u32_e32 v38, 3, v34
	v_and_b32_e32 v34, 3, v38
	v_lshlrev_b32_e32 v62, 2, v38
	s_waitcnt lgkmcnt(2)
	v_mov_b32_dpp v43, v43 quad_perm:[1,2,3,0] row_mask:0xf bank_mask:0xf
	v_lshl_or_b32 v60, v34, 2, v66
	v_or_b32_e32 v38, 16, v62
	v_mov_b32_dpp v61, v47 quad_perm:[3,0,1,2] row_mask:0xf bank_mask:0xf
	v_mov_b32_dpp v47, v51 quad_perm:[2,3,0,1] row_mask:0xf bank_mask:0xf
	scratch_store_dword v56, v48, off
	scratch_store_dword v56, v47, off offset:16
	scratch_store_dword v60, v42, off
	scratch_store_dword v38, v43, off offset:128
	v_mov_b32_dpp v51, v53 quad_perm:[2,3,0,1] row_mask:0xf bank_mask:0xf
	v_mov_b32_dpp v53, v55 quad_perm:[2,3,0,1] row_mask:0xf bank_mask:0xf
	s_waitcnt lgkmcnt(1)
	v_mov_b32_dpp v45, v45 quad_perm:[1,2,3,0] row_mask:0xf bank_mask:0xf
	s_waitcnt lgkmcnt(0)
	v_mov_b32_dpp v55, v39 quad_perm:[1,2,3,0] row_mask:0xf bank_mask:0xf
	scratch_load_dwordx3 v[34:36], off, off offset:132
	scratch_load_dwordx3 v[38:40], off, off offset:148
	s_nop 0
	scratch_store_dword v59, v46, off offset:64
	scratch_store_dword v56, v50, off offset:32
	scratch_store_dword v60, v44, off offset:32
	v_or_b32_e32 v46, 48, v62
	scratch_store_dword v56, v51, off offset:48
	scratch_store_dword v46, v45, off offset:128
	v_or_b32_e32 v45, 0x50, v62
	scratch_load_dwordx3 v[42:44], off, off offset:164
	scratch_load_dwordx3 v[46:48], off, off offset:180
	s_nop 0
	scratch_store_dword v59, v61, off offset:80
	scratch_store_dword v56, v52, off offset:64
	;; [unrolled: 1-line block ×5, first 2 shown]
	scratch_load_dwordx3 v[66:68], off, off offset:196
	v_mov_b32_dpp v45, v49 quad_perm:[3,0,1,2] row_mask:0xf bank_mask:0xf
	scratch_load_dwordx3 v[70:72], off, off offset:212
	s_nop 0
	scratch_store_dword v59, v65, off offset:96
	scratch_store_dword v56, v54, off offset:96
	;; [unrolled: 1-line block ×3, first 2 shown]
	scratch_load_dwordx3 v[74:76], off, off offset:228
	v_mov_b32_dpp v49, v57 quad_perm:[2,3,0,1] row_mask:0xf bank_mask:0xf
	scratch_store_dword v69, v37, off offset:112
	scratch_store_dword v59, v45, off offset:112
	;; [unrolled: 1-line block ×3, first 2 shown]
	ds_bpermute_b32 v41, v58, v41
	v_or_b32_e32 v37, 0x70, v62
	scratch_load_dwordx2 v[62:63], off, off offset:128
	scratch_load_dwordx2 v[58:59], off, off offset:144
	;; [unrolled: 1-line block ×4, first 2 shown]
	s_waitcnt lgkmcnt(0)
	v_mov_b32_dpp v41, v41 quad_perm:[1,2,3,0] row_mask:0xf bank_mask:0xf
	scratch_store_dword v37, v41, off offset:128
	s_waitcnt vmcnt(27)
	v_mov_b32_dpp v64, v35 quad_perm:[2,3,0,1] row_mask:0xf bank_mask:0xf
	s_waitcnt vmcnt(26)
	v_mov_b32_dpp v60, v39 quad_perm:[2,3,0,1] row_mask:0xf bank_mask:0xf
	v_mov_b32_dpp v65, v36 quad_perm:[3,0,1,2] row_mask:0xf bank_mask:0xf
	;; [unrolled: 1-line block ×3, first 2 shown]
	s_waitcnt vmcnt(20)
	v_mov_b32_dpp v56, v43 quad_perm:[2,3,0,1] row_mask:0xf bank_mask:0xf
	s_waitcnt vmcnt(19)
	v_mov_b32_dpp v52, v47 quad_perm:[2,3,0,1] row_mask:0xf bank_mask:0xf
	v_mov_b32_dpp v53, v48 quad_perm:[3,0,1,2] row_mask:0xf bank_mask:0xf
	;; [unrolled: 1-line block ×3, first 2 shown]
	s_waitcnt vmcnt(13)
	v_mov_b32_dpp v48, v67 quad_perm:[2,3,0,1] row_mask:0xf bank_mask:0xf
	v_mov_b32_dpp v49, v68 quad_perm:[3,0,1,2] row_mask:0xf bank_mask:0xf
	s_waitcnt vmcnt(12)
	v_mov_b32_dpp v44, v71 quad_perm:[2,3,0,1] row_mask:0xf bank_mask:0xf
	v_mov_b32_dpp v45, v72 quad_perm:[3,0,1,2] row_mask:0xf bank_mask:0xf
	;; [unrolled: 3-line block ×3, first 2 shown]
	s_waitcnt vmcnt(4)
	v_mov_b32_dpp v63, v34 quad_perm:[1,2,3,0] row_mask:0xf bank_mask:0xf
	s_waitcnt vmcnt(3)
	v_mov_b32_dpp v59, v38 quad_perm:[1,2,3,0] row_mask:0xf bank_mask:0xf
	;; [unrolled: 2-line block ×4, first 2 shown]
	scratch_load_dwordx2 v[46:47], off, off offset:192
	scratch_load_dwordx2 v[42:43], off, off offset:208
	;; [unrolled: 1-line block ×3, first 2 shown]
	s_waitcnt vmcnt(2)
	v_mov_b32_dpp v47, v66 quad_perm:[1,2,3,0] row_mask:0xf bank_mask:0xf
	scratch_load_dwordx3 v[66:68], off, off offset:244
	scratch_load_dwordx2 v[34:35], off, off offset:240
	s_waitcnt vmcnt(3)
	v_mov_b32_dpp v43, v70 quad_perm:[1,2,3,0] row_mask:0xf bank_mask:0xf
	s_waitcnt vmcnt(2)
	v_mov_b32_dpp v39, v74 quad_perm:[1,2,3,0] row_mask:0xf bank_mask:0xf
	;; [unrolled: 2-line block ×3, first 2 shown]
	v_mov_b32_dpp v37, v68 quad_perm:[3,0,1,2] row_mask:0xf bank_mask:0xf
	s_waitcnt vmcnt(0)
	v_mov_b32_dpp v35, v66 quad_perm:[1,2,3,0] row_mask:0xf bank_mask:0xf
	s_cbranch_execz .LBB2_3
	s_branch .LBB2_4
.LBB2_2:
                                        ; implicit-def: $vgpr34_vgpr35
                                        ; implicit-def: $vgpr38_vgpr39
                                        ; implicit-def: $vgpr42_vgpr43
                                        ; implicit-def: $vgpr46_vgpr47
                                        ; implicit-def: $vgpr50_vgpr51
                                        ; implicit-def: $vgpr54_vgpr55
                                        ; implicit-def: $vgpr58_vgpr59
                                        ; implicit-def: $vgpr62_vgpr63
.LBB2_3:
	v_lshlrev_b32_e32 v34, 2, v1
	v_xor_b32_e32 v34, 16, v34
	s_waitcnt vmcnt(4)
	scratch_store_dwordx4 off, v[18:21], off
	scratch_store_dwordx4 off, v[14:17], off offset:16
	scratch_store_dwordx4 off, v[10:13], off offset:32
	;; [unrolled: 1-line block ×3, first 2 shown]
	s_waitcnt vmcnt(4)
	scratch_store_dwordx4 off, v[30:33], off offset:64
	scratch_store_dwordx4 off, v[26:29], off offset:80
	;; [unrolled: 1-line block ×4, first 2 shown]
	ds_bpermute_b32 v30, v34, v30
	v_bfe_u32 v35, v1, 2, 1
	v_lshlrev_b32_e32 v36, 2, v35
	ds_bpermute_b32 v31, v34, v31
	v_or_b32_e32 v38, 0, v36
	ds_bpermute_b32 v32, v34, v32
	ds_bpermute_b32 v33, v34, v33
	v_mov_b32_e32 v37, 0
	scratch_store_dword v38, v18, off
	scratch_store_dword v38, v19, off offset:8
	scratch_store_dword v38, v20, off offset:16
	;; [unrolled: 1-line block ×15, first 2 shown]
	v_xor_b32_e32 v6, 1, v35
	ds_bpermute_b32 v26, v34, v26
	v_lshl_or_b32 v6, v6, 2, v37
	ds_bpermute_b32 v27, v34, v27
	ds_bpermute_b32 v29, v34, v29
	s_waitcnt lgkmcnt(6)
	scratch_store_dword v6, v30, off
	v_xor_b32_e32 v6, 3, v35
	ds_bpermute_b32 v28, v34, v28
	ds_bpermute_b32 v22, v34, v22
	v_lshl_or_b32 v6, v6, 2, v37
	v_xor_b32_e32 v7, 7, v35
	ds_bpermute_b32 v23, v34, v23
	s_waitcnt lgkmcnt(8)
	scratch_store_dword v6, v31, off
	v_sub_u32_e32 v6, 0, v36
	v_lshlrev_b32_e32 v7, 2, v7
	ds_bpermute_b32 v30, v34, v5
	ds_bpermute_b32 v24, v34, v24
	s_waitcnt lgkmcnt(9)
	scratch_store_dword v6, v32, off offset:20
	s_waitcnt lgkmcnt(8)
	scratch_store_dword v7, v33, off
	s_waitcnt lgkmcnt(7)
	scratch_store_dword v6, v26, off offset:36
	s_waitcnt lgkmcnt(6)
	scratch_store_dword v6, v27, off offset:44
	;; [unrolled: 2-line block ×3, first 2 shown]
	v_xor_b32_e32 v7, 15, v35
	ds_bpermute_b32 v25, v34, v25
	v_lshlrev_b32_e32 v7, 2, v7
	ds_bpermute_b32 v2, v34, v2
	ds_bpermute_b32 v3, v34, v3
	;; [unrolled: 1-line block ×3, first 2 shown]
	scratch_store_dword v7, v29, off
	s_waitcnt lgkmcnt(7)
	scratch_store_dword v6, v22, off offset:68
	s_waitcnt lgkmcnt(6)
	scratch_store_dword v6, v23, off offset:76
	;; [unrolled: 2-line block ×7, first 2 shown]
	v_xor_b32_e32 v26, 31, v35
	scratch_load_dwordx4 v[6:9], off, off
	scratch_load_dwordx4 v[10:13], off, off offset:16
	scratch_load_dwordx4 v[14:17], off, off offset:32
	;; [unrolled: 1-line block ×3, first 2 shown]
	v_lshlrev_b32_e32 v31, 2, v26
	scratch_store_dword v31, v30, off
	scratch_load_dwordx4 v[2:5], off, off offset:64
	scratch_load_dwordx4 v[22:25], off, off offset:80
	;; [unrolled: 1-line block ×3, first 2 shown]
	v_mov_b32_e32 v35, 0x80
	scratch_load_dwordx4 v[30:33], off, off offset:112
	s_waitcnt vmcnt(8)
	ds_bpermute_b32 v7, v34, v7
	ds_bpermute_b32 v9, v34, v9
	s_waitcnt vmcnt(6)
	ds_bpermute_b32 v15, v34, v15
	ds_bpermute_b32 v17, v34, v17
	;; [unrolled: 3-line block ×3, first 2 shown]
	ds_bpermute_b32 v11, v34, v11
	ds_bpermute_b32 v13, v34, v13
	s_waitcnt vmcnt(3)
	ds_bpermute_b32 v3, v34, v3
	ds_bpermute_b32 v5, v34, v5
	s_waitcnt vmcnt(2)
	;; [unrolled: 3-line block ×4, first 2 shown]
	ds_bpermute_b32 v31, v34, v31
	ds_bpermute_b32 v33, v34, v33
	v_and_b32_e32 v34, 3, v1
	v_add_u32_e32 v1, -1, v1
	v_and_b32_e32 v1, 3, v1
	v_mov_b32_dpp v14, v14 quad_perm:[3,0,1,2] row_mask:0xf bank_mask:0xf
	v_lshl_or_b32 v36, v34, 2, v35
	v_lshl_or_b32 v1, v1, 2, v35
	s_waitcnt lgkmcnt(13)
	v_mov_b32_dpp v15, v15 quad_perm:[3,0,1,2] row_mask:0xf bank_mask:0xf
	v_mov_b32_dpp v16, v16 quad_perm:[3,0,1,2] row_mask:0xf bank_mask:0xf
	s_waitcnt lgkmcnt(12)
	v_mov_b32_dpp v17, v17 quad_perm:[3,0,1,2] row_mask:0xf bank_mask:0xf
	v_mov_b32_dpp v18, v18 quad_perm:[3,0,1,2] row_mask:0xf bank_mask:0xf
	;; [unrolled: 3-line block ×3, first 2 shown]
	s_waitcnt lgkmcnt(10)
	v_mov_b32_dpp v21, v21 quad_perm:[3,0,1,2] row_mask:0xf bank_mask:0xf
	scratch_store_dword v36, v6, off
	scratch_store_dword v36, v7, off offset:16
	scratch_store_dword v36, v8, off offset:32
	;; [unrolled: 1-line block ×4, first 2 shown]
	s_waitcnt lgkmcnt(9)
	scratch_store_dword v36, v11, off offset:80
	scratch_store_dword v36, v12, off offset:96
	s_waitcnt lgkmcnt(8)
	scratch_store_dword v36, v13, off offset:112
	scratch_store_dword v1, v14, off
	scratch_store_dword v1, v15, off offset:16
	scratch_store_dword v1, v16, off offset:32
	;; [unrolled: 1-line block ×7, first 2 shown]
	v_xor_b32_e32 v1, 2, v34
	v_mov_b32_dpp v2, v2 quad_perm:[2,3,0,1] row_mask:0xf bank_mask:0xf
	v_lshl_or_b32 v9, v1, 2, v35
	v_add_u32_e32 v1, 3, v1
	s_waitcnt lgkmcnt(7)
	v_mov_b32_dpp v3, v3 quad_perm:[2,3,0,1] row_mask:0xf bank_mask:0xf
	v_mov_b32_dpp v4, v4 quad_perm:[2,3,0,1] row_mask:0xf bank_mask:0xf
	s_waitcnt lgkmcnt(6)
	v_mov_b32_dpp v5, v5 quad_perm:[2,3,0,1] row_mask:0xf bank_mask:0xf
	v_mov_b32_dpp v22, v22 quad_perm:[2,3,0,1] row_mask:0xf bank_mask:0xf
	scratch_store_dword v9, v2, off
	scratch_store_dword v9, v3, off offset:16
	scratch_store_dword v9, v4, off offset:32
	;; [unrolled: 1-line block ×4, first 2 shown]
	v_and_b32_e32 v2, 3, v1
	v_lshlrev_b32_e32 v1, 2, v1
	v_mov_b32_dpp v26, v26 quad_perm:[1,2,3,0] row_mask:0xf bank_mask:0xf
	s_waitcnt lgkmcnt(3)
	v_mov_b32_dpp v27, v27 quad_perm:[1,2,3,0] row_mask:0xf bank_mask:0xf
	v_lshl_or_b32 v5, v2, 2, v35
	v_or_b32_e32 v6, 16, v1
	v_mov_b32_dpp v23, v23 quad_perm:[2,3,0,1] row_mask:0xf bank_mask:0xf
	s_waitcnt lgkmcnt(2)
	v_mov_b32_dpp v29, v29 quad_perm:[1,2,3,0] row_mask:0xf bank_mask:0xf
	scratch_store_dword v5, v26, off
	scratch_store_dword v6, v27, off offset:128
	v_or_b32_e32 v13, 48, v1
	v_mov_b32_dpp v24, v24 quad_perm:[2,3,0,1] row_mask:0xf bank_mask:0xf
	v_mov_b32_dpp v28, v28 quad_perm:[1,2,3,0] row_mask:0xf bank_mask:0xf
	s_waitcnt lgkmcnt(1)
	v_mov_b32_dpp v31, v31 quad_perm:[1,2,3,0] row_mask:0xf bank_mask:0xf
	scratch_load_dwordx3 v[2:4], off, off offset:132
	scratch_load_dwordx3 v[6:8], off, off offset:148
	s_nop 0
	scratch_store_dword v9, v23, off offset:80
	scratch_store_dword v5, v28, off offset:32
	;; [unrolled: 1-line block ×3, first 2 shown]
	v_or_b32_e32 v13, 0x50, v1
	v_mov_b32_dpp v25, v25 quad_perm:[2,3,0,1] row_mask:0xf bank_mask:0xf
	v_mov_b32_dpp v30, v30 quad_perm:[1,2,3,0] row_mask:0xf bank_mask:0xf
	scratch_load_dwordx3 v[10:12], off, off offset:164
	scratch_load_dwordx3 v[14:16], off, off offset:180
	s_nop 0
	scratch_store_dword v9, v24, off offset:96
	scratch_store_dword v5, v30, off offset:64
	;; [unrolled: 1-line block ×3, first 2 shown]
	v_mov_b32_dpp v32, v32 quad_perm:[1,2,3,0] row_mask:0xf bank_mask:0xf
	scratch_load_dwordx3 v[18:20], off, off offset:196
	scratch_load_dwordx3 v[22:24], off, off offset:212
	s_nop 0
	scratch_store_dword v9, v25, off offset:112
	scratch_store_dword v5, v32, off offset:96
	scratch_load_dwordx3 v[26:28], off, off offset:228
	s_waitcnt lgkmcnt(0)
	v_mov_b32_dpp v33, v33 quad_perm:[1,2,3,0] row_mask:0xf bank_mask:0xf
	v_or_b32_e32 v1, 0x70, v1
	scratch_store_dword v1, v33, off offset:128
	scratch_load_dwordx3 v[30:32], off, off offset:244
	scratch_load_dwordx2 v[62:63], off, off offset:128
	scratch_load_dwordx2 v[58:59], off, off offset:144
	;; [unrolled: 1-line block ×8, first 2 shown]
	s_waitcnt vmcnt(24)
	v_mov_b32_dpp v1, v2 quad_perm:[1,2,3,0] row_mask:0xf bank_mask:0xf
	v_mov_b32_dpp v64, v3 quad_perm:[2,3,0,1] row_mask:0xf bank_mask:0xf
	;; [unrolled: 1-line block ×3, first 2 shown]
	s_waitcnt vmcnt(23)
	v_mov_b32_dpp v2, v6 quad_perm:[1,2,3,0] row_mask:0xf bank_mask:0xf
	v_mov_b32_dpp v60, v7 quad_perm:[2,3,0,1] row_mask:0xf bank_mask:0xf
	;; [unrolled: 1-line block ×3, first 2 shown]
	s_waitcnt vmcnt(7)
	v_mov_b32_e32 v63, v1
	v_mov_b32_dpp v3, v10 quad_perm:[1,2,3,0] row_mask:0xf bank_mask:0xf
	v_mov_b32_dpp v4, v14 quad_perm:[1,2,3,0] row_mask:0xf bank_mask:0xf
	;; [unrolled: 1-line block ×18, first 2 shown]
	s_waitcnt vmcnt(6)
	v_mov_b32_e32 v59, v2
	s_waitcnt vmcnt(5)
	v_mov_b32_e32 v55, v3
	;; [unrolled: 2-line block ×7, first 2 shown]
.LBB2_4:
	v_lshlrev_b32_e32 v0, 2, v0
	global_store_dwordx4 v0, v[62:65], s[6:7]
	global_store_dwordx4 v0, v[58:61], s[6:7] offset:16
	global_store_dwordx4 v0, v[54:57], s[6:7] offset:32
	;; [unrolled: 1-line block ×7, first 2 shown]
	s_endpgm
	.section	.rodata,"a",@progbits
	.p2align	6, 0x0
	.amdhsa_kernel _Z20warp_exchange_kernelILj32ELj8EN6common25StripedToBlockedShuffleOpEiEvPT2_S3_b
		.amdhsa_group_segment_fixed_size 0
		.amdhsa_private_segment_fixed_size 272
		.amdhsa_kernarg_size 20
		.amdhsa_user_sgpr_count 2
		.amdhsa_user_sgpr_dispatch_ptr 0
		.amdhsa_user_sgpr_queue_ptr 0
		.amdhsa_user_sgpr_kernarg_segment_ptr 1
		.amdhsa_user_sgpr_dispatch_id 0
		.amdhsa_user_sgpr_kernarg_preload_length 0
		.amdhsa_user_sgpr_kernarg_preload_offset 0
		.amdhsa_user_sgpr_private_segment_size 0
		.amdhsa_uses_dynamic_stack 0
		.amdhsa_enable_private_segment 1
		.amdhsa_system_sgpr_workgroup_id_x 1
		.amdhsa_system_sgpr_workgroup_id_y 0
		.amdhsa_system_sgpr_workgroup_id_z 0
		.amdhsa_system_sgpr_workgroup_info 0
		.amdhsa_system_vgpr_workitem_id 0
		.amdhsa_next_free_vgpr 77
		.amdhsa_next_free_sgpr 8
		.amdhsa_accum_offset 80
		.amdhsa_reserve_vcc 0
		.amdhsa_float_round_mode_32 0
		.amdhsa_float_round_mode_16_64 0
		.amdhsa_float_denorm_mode_32 3
		.amdhsa_float_denorm_mode_16_64 3
		.amdhsa_dx10_clamp 1
		.amdhsa_ieee_mode 1
		.amdhsa_fp16_overflow 0
		.amdhsa_tg_split 0
		.amdhsa_exception_fp_ieee_invalid_op 0
		.amdhsa_exception_fp_denorm_src 0
		.amdhsa_exception_fp_ieee_div_zero 0
		.amdhsa_exception_fp_ieee_overflow 0
		.amdhsa_exception_fp_ieee_underflow 0
		.amdhsa_exception_fp_ieee_inexact 0
		.amdhsa_exception_int_div_zero 0
	.end_amdhsa_kernel
	.section	.text._Z20warp_exchange_kernelILj32ELj8EN6common25StripedToBlockedShuffleOpEiEvPT2_S3_b,"axG",@progbits,_Z20warp_exchange_kernelILj32ELj8EN6common25StripedToBlockedShuffleOpEiEvPT2_S3_b,comdat
.Lfunc_end2:
	.size	_Z20warp_exchange_kernelILj32ELj8EN6common25StripedToBlockedShuffleOpEiEvPT2_S3_b, .Lfunc_end2-_Z20warp_exchange_kernelILj32ELj8EN6common25StripedToBlockedShuffleOpEiEvPT2_S3_b
                                        ; -- End function
	.section	.AMDGPU.csdata,"",@progbits
; Kernel info:
; codeLenInByte = 3784
; NumSgprs: 14
; NumVgprs: 77
; NumAgprs: 0
; TotalNumVgprs: 77
; ScratchSize: 272
; MemoryBound: 1
; FloatMode: 240
; IeeeMode: 1
; LDSByteSize: 0 bytes/workgroup (compile time only)
; SGPRBlocks: 1
; VGPRBlocks: 9
; NumSGPRsForWavesPerEU: 14
; NumVGPRsForWavesPerEU: 77
; AccumOffset: 80
; Occupancy: 6
; WaveLimiterHint : 1
; COMPUTE_PGM_RSRC2:SCRATCH_EN: 1
; COMPUTE_PGM_RSRC2:USER_SGPR: 2
; COMPUTE_PGM_RSRC2:TRAP_HANDLER: 0
; COMPUTE_PGM_RSRC2:TGID_X_EN: 1
; COMPUTE_PGM_RSRC2:TGID_Y_EN: 0
; COMPUTE_PGM_RSRC2:TGID_Z_EN: 0
; COMPUTE_PGM_RSRC2:TIDIG_COMP_CNT: 0
; COMPUTE_PGM_RSRC3_GFX90A:ACCUM_OFFSET: 19
; COMPUTE_PGM_RSRC3_GFX90A:TG_SPLIT: 0
	.section	.text._Z20warp_exchange_kernelILj32ELj64EN6common25StripedToBlockedShuffleOpEaEvPT2_S3_b,"axG",@progbits,_Z20warp_exchange_kernelILj32ELj64EN6common25StripedToBlockedShuffleOpEaEvPT2_S3_b,comdat
	.protected	_Z20warp_exchange_kernelILj32ELj64EN6common25StripedToBlockedShuffleOpEaEvPT2_S3_b ; -- Begin function _Z20warp_exchange_kernelILj32ELj64EN6common25StripedToBlockedShuffleOpEaEvPT2_S3_b
	.globl	_Z20warp_exchange_kernelILj32ELj64EN6common25StripedToBlockedShuffleOpEaEvPT2_S3_b
	.p2align	8
	.type	_Z20warp_exchange_kernelILj32ELj64EN6common25StripedToBlockedShuffleOpEaEvPT2_S3_b,@function
_Z20warp_exchange_kernelILj32ELj64EN6common25StripedToBlockedShuffleOpEaEvPT2_S3_b: ; @_Z20warp_exchange_kernelILj32ELj64EN6common25StripedToBlockedShuffleOpEaEvPT2_S3_b
; %bb.0:
	s_load_dwordx4 s[64:67], s[0:1], 0x0
	s_load_dword s28, s[0:1], 0x10
	v_lshlrev_b32_e32 v8, 5, v0
	v_mbcnt_lo_u32_b32 v10, -1, 0
	v_mbcnt_hi_u32_b32 v10, -1, v10
	s_waitcnt lgkmcnt(0)
	global_load_dwordx4 v[4:7], v8, s[64:65]
	global_load_dwordx4 v[0:3], v8, s[64:65] offset:16
	v_lshlrev_b32_e32 v11, 5, v10
	v_and_b32_e32 v12, 64, v10
	v_lshrrev_b32_e32 v20, 1, v10
	v_and_or_b32 v10, v11, 32, v12
	v_mov_b32_e32 v9, 0
	s_movk_i32 s33, 0xff
	v_cmp_eq_u32_e64 s[62:63], 1, v20
	v_cmp_eq_u32_e64 s[52:53], 2, v20
	;; [unrolled: 1-line block ×30, first 2 shown]
	v_lshlrev_b32_e32 v10, 2, v10
	s_bitcmp0_b32 s28, 0
	v_cmp_eq_u32_e64 s[28:29], 31, v20
	s_waitcnt vmcnt(1)
	v_lshrrev_b32_e32 v13, 24, v4
	v_lshrrev_b32_e32 v11, 24, v5
	;; [unrolled: 1-line block ×3, first 2 shown]
	s_waitcnt vmcnt(0)
	v_lshrrev_b32_e32 v37, 8, v0
	v_lshrrev_b32_e32 v36, 8, v1
	v_lshrrev_b32_e32 v35, 8, v2
	v_lshrrev_b32_e32 v34, 8, v3
	v_and_b32_e32 v18, 0xff, v4
	v_bfe_u32 v19, v4, 8, 8
	v_bfe_u32 v17, v4, 16, 8
	v_and_b32_e32 v16, 0xff, v5
	v_bfe_u32 v15, v5, 8, 8
	v_bfe_u32 v14, v5, 16, 8
	;; [unrolled: 3-line block ×3, first 2 shown]
	s_cbranch_scc0 .LBB3_2
; %bb.1:
	ds_bpermute_b32 v20, v10, v18
	ds_bpermute_b32 v21, v10, v19
	;; [unrolled: 1-line block ×6, first 2 shown]
	s_waitcnt lgkmcnt(4)
	v_cndmask_b32_e64 v20, v20, v21, s[62:63]
	ds_bpermute_b32 v21, v10, v17
	s_mov_b32 s64, 0xffff
	v_and_b32_sdwa v61, s64, v6 dst_sel:DWORD dst_unused:UNUSED_PAD src0_sel:DWORD src1_sel:BYTE_3
	v_and_b32_e32 v60, 0xff, v7
	v_and_b32_e32 v59, 0xff, v38
	s_waitcnt lgkmcnt(0)
	v_cndmask_b32_e64 v20, v20, v21, s[52:53]
	ds_bpermute_b32 v21, v10, v11
	v_cndmask_b32_e64 v20, v20, v22, s[54:55]
	ds_bpermute_b32 v22, v10, v12
	;; [unrolled: 2-line block ×5, first 2 shown]
	s_waitcnt lgkmcnt(4)
	v_cndmask_b32_e64 v20, v20, v21, s[42:43]
	ds_bpermute_b32 v21, v10, v60
	v_and_b32_sdwa v58, v7, s33 dst_sel:DWORD dst_unused:UNUSED_PAD src0_sel:WORD_1 src1_sel:DWORD
	s_waitcnt lgkmcnt(4)
	v_cndmask_b32_e64 v20, v20, v22, s[44:45]
	ds_bpermute_b32 v22, v10, v59
	v_and_b32_sdwa v57, s64, v7 dst_sel:DWORD dst_unused:UNUSED_PAD src0_sel:DWORD src1_sel:BYTE_3
	s_waitcnt lgkmcnt(4)
	v_cndmask_b32_e64 v20, v20, v23, s[46:47]
	ds_bpermute_b32 v23, v10, v58
	v_and_b32_e32 v56, 0xff, v0
	s_waitcnt lgkmcnt(4)
	v_cndmask_b32_e64 v20, v20, v24, s[48:49]
	ds_bpermute_b32 v24, v10, v57
	v_and_b32_e32 v55, 0xff, v37
	s_waitcnt lgkmcnt(4)
	v_cndmask_b32_e64 v20, v20, v25, s[50:51]
	ds_bpermute_b32 v25, v10, v56
	v_and_b32_sdwa v53, v0, s33 dst_sel:DWORD dst_unused:UNUSED_PAD src0_sel:WORD_1 src1_sel:DWORD
	s_waitcnt lgkmcnt(4)
	v_cndmask_b32_e64 v20, v20, v21, s[30:31]
	ds_bpermute_b32 v21, v10, v55
	v_and_b32_sdwa v52, s64, v0 dst_sel:DWORD dst_unused:UNUSED_PAD src0_sel:DWORD src1_sel:BYTE_3
	s_waitcnt lgkmcnt(4)
	v_cndmask_b32_e64 v20, v20, v22, s[34:35]
	ds_bpermute_b32 v22, v10, v53
	v_and_b32_e32 v51, 0xff, v1
	s_waitcnt lgkmcnt(4)
	v_cndmask_b32_e64 v20, v20, v23, s[36:37]
	ds_bpermute_b32 v23, v10, v52
	v_and_b32_e32 v50, 0xff, v36
	;; [unrolled: 16-line block ×4, first 2 shown]
	s_waitcnt lgkmcnt(4)
	v_cndmask_b32_e64 v20, v20, v22, s[10:11]
	ds_bpermute_b32 v22, v10, v41
	v_and_b32_sdwa v43, v3, s33 dst_sel:DWORD dst_unused:UNUSED_PAD src0_sel:WORD_1 src1_sel:DWORD
	s_waitcnt lgkmcnt(4)
	v_cndmask_b32_e64 v20, v20, v23, s[12:13]
	ds_bpermute_b32 v23, v10, v42
	v_and_b32_sdwa v44, s64, v3 dst_sel:DWORD dst_unused:UNUSED_PAD src0_sel:DWORD src1_sel:BYTE_3
	s_waitcnt lgkmcnt(4)
	v_cndmask_b32_e64 v20, v20, v24, s[14:15]
	ds_bpermute_b32 v24, v10, v43
	s_waitcnt lgkmcnt(4)
	v_cndmask_b32_e64 v20, v20, v25, s[16:17]
	ds_bpermute_b32 v25, v10, v44
	s_waitcnt lgkmcnt(4)
	v_cndmask_b32_e64 v20, v20, v21, s[0:1]
	s_waitcnt lgkmcnt(3)
	v_cndmask_b32_e64 v20, v20, v22, s[2:3]
	ds_bpermute_b32 v21, v10, v18 offset:4
	ds_bpermute_b32 v22, v10, v19 offset:4
	s_waitcnt lgkmcnt(4)
	v_cndmask_b32_e64 v20, v20, v23, s[4:5]
	ds_bpermute_b32 v23, v10, v17 offset:4
	s_waitcnt lgkmcnt(4)
	v_cndmask_b32_e64 v20, v20, v24, s[6:7]
	;; [unrolled: 3-line block ×3, first 2 shown]
	ds_bpermute_b32 v25, v10, v16 offset:4
	ds_bpermute_b32 v26, v10, v15 offset:4
	s_waitcnt lgkmcnt(4)
	v_cndmask_b32_e64 v21, v21, v22, s[62:63]
	ds_bpermute_b32 v22, v10, v14 offset:4
	s_waitcnt lgkmcnt(4)
	v_cndmask_b32_e64 v21, v21, v23, s[52:53]
	;; [unrolled: 3-line block ×24, first 2 shown]
	s_waitcnt lgkmcnt(3)
	v_cndmask_b32_e64 v21, v21, v26, s[14:15]
	ds_bpermute_b32 v25, v10, v42 offset:4
	ds_bpermute_b32 v26, v10, v43 offset:4
	s_waitcnt lgkmcnt(4)
	v_cndmask_b32_e64 v21, v21, v22, s[16:17]
	s_waitcnt lgkmcnt(3)
	v_cndmask_b32_e64 v21, v21, v23, s[0:1]
	;; [unrolled: 2-line block ×3, first 2 shown]
	ds_bpermute_b32 v22, v10, v44 offset:4
	ds_bpermute_b32 v23, v10, v18 offset:8
	;; [unrolled: 1-line block ×3, first 2 shown]
	s_waitcnt lgkmcnt(4)
	v_cndmask_b32_e64 v21, v21, v25, s[4:5]
	ds_bpermute_b32 v25, v10, v17 offset:8
	s_waitcnt lgkmcnt(4)
	v_cndmask_b32_e64 v21, v21, v26, s[6:7]
	ds_bpermute_b32 v26, v10, v13 offset:8
	ds_bpermute_b32 v27, v10, v16 offset:8
	s_waitcnt lgkmcnt(5)
	v_cndmask_b32_e64 v21, v21, v22, s[28:29]
	s_waitcnt lgkmcnt(3)
	v_cndmask_b32_e64 v22, v23, v24, s[62:63]
	ds_bpermute_b32 v23, v10, v15 offset:8
	ds_bpermute_b32 v24, v10, v14 offset:8
	s_waitcnt lgkmcnt(4)
	v_cndmask_b32_e64 v22, v22, v25, s[52:53]
	ds_bpermute_b32 v25, v10, v11 offset:8
	s_waitcnt lgkmcnt(4)
	v_cndmask_b32_e64 v22, v22, v26, s[54:55]
	;; [unrolled: 3-line block ×24, first 2 shown]
	s_waitcnt lgkmcnt(3)
	v_cndmask_b32_e64 v22, v22, v24, s[16:17]
	ds_bpermute_b32 v23, v10, v43 offset:8
	s_waitcnt lgkmcnt(3)
	v_cndmask_b32_e64 v22, v22, v25, s[0:1]
	ds_bpermute_b32 v24, v10, v44 offset:8
	;; [unrolled: 3-line block ×3, first 2 shown]
	ds_bpermute_b32 v26, v10, v19 offset:12
	s_waitcnt lgkmcnt(4)
	v_cndmask_b32_e64 v22, v22, v27, s[4:5]
	ds_bpermute_b32 v27, v10, v17 offset:12
	ds_bpermute_b32 v28, v10, v13 offset:12
	s_waitcnt lgkmcnt(5)
	v_cndmask_b32_e64 v22, v22, v23, s[6:7]
	s_waitcnt lgkmcnt(4)
	v_cndmask_b32_e64 v22, v22, v24, s[28:29]
	ds_bpermute_b32 v24, v10, v16 offset:12
	s_waitcnt lgkmcnt(3)
	v_cndmask_b32_e64 v23, v25, v26, s[62:63]
	ds_bpermute_b32 v25, v10, v15 offset:12
	ds_bpermute_b32 v26, v10, v14 offset:12
	s_waitcnt lgkmcnt(4)
	v_cndmask_b32_e64 v23, v23, v27, s[52:53]
	ds_bpermute_b32 v27, v10, v11 offset:12
	s_waitcnt lgkmcnt(4)
	v_cndmask_b32_e64 v23, v23, v28, s[54:55]
	;; [unrolled: 3-line block ×23, first 2 shown]
	s_waitcnt lgkmcnt(3)
	v_cndmask_b32_e64 v23, v23, v25, s[14:15]
	ds_bpermute_b32 v24, v10, v42 offset:12
	s_waitcnt lgkmcnt(3)
	v_cndmask_b32_e64 v23, v23, v26, s[16:17]
	ds_bpermute_b32 v25, v10, v43 offset:12
	;; [unrolled: 3-line block ×4, first 2 shown]
	ds_bpermute_b32 v28, v10, v19 offset:16
	ds_bpermute_b32 v29, v10, v17 offset:16
	s_waitcnt lgkmcnt(5)
	v_cndmask_b32_e64 v23, v23, v24, s[4:5]
	s_waitcnt lgkmcnt(4)
	v_cndmask_b32_e64 v23, v23, v25, s[6:7]
	ds_bpermute_b32 v25, v10, v13 offset:16
	s_waitcnt lgkmcnt(4)
	v_cndmask_b32_e64 v23, v23, v26, s[28:29]
	ds_bpermute_b32 v26, v10, v16 offset:16
	;; [unrolled: 3-line block ×3, first 2 shown]
	ds_bpermute_b32 v28, v10, v14 offset:16
	s_waitcnt lgkmcnt(4)
	v_cndmask_b32_e64 v24, v24, v29, s[52:53]
	ds_bpermute_b32 v29, v10, v11 offset:16
	s_waitcnt lgkmcnt(4)
	v_cndmask_b32_e64 v24, v24, v25, s[54:55]
	;; [unrolled: 3-line block ×26, first 2 shown]
	ds_bpermute_b32 v29, v10, v18 offset:20
	ds_bpermute_b32 v30, v10, v19 offset:20
	s_waitcnt lgkmcnt(5)
	v_cndmask_b32_e64 v24, v24, v25, s[2:3]
	s_waitcnt lgkmcnt(4)
	v_cndmask_b32_e64 v24, v24, v26, s[4:5]
	ds_bpermute_b32 v26, v10, v17 offset:20
	s_waitcnt lgkmcnt(4)
	v_cndmask_b32_e64 v24, v24, v27, s[6:7]
	ds_bpermute_b32 v27, v10, v13 offset:20
	;; [unrolled: 3-line block ×4, first 2 shown]
	ds_bpermute_b32 v30, v10, v14 offset:20
	s_waitcnt lgkmcnt(4)
	v_cndmask_b32_e64 v25, v25, v26, s[52:53]
	ds_bpermute_b32 v26, v10, v11 offset:20
	s_waitcnt lgkmcnt(4)
	v_cndmask_b32_e64 v25, v25, v27, s[54:55]
	;; [unrolled: 3-line block ×26, first 2 shown]
	s_waitcnt lgkmcnt(3)
	v_cndmask_b32_e64 v25, v25, v27, s[2:3]
	ds_bpermute_b32 v26, v10, v18 offset:24
	ds_bpermute_b32 v27, v10, v19 offset:24
	s_waitcnt lgkmcnt(4)
	v_cndmask_b32_e64 v25, v25, v28, s[4:5]
	ds_bpermute_b32 v28, v10, v17 offset:24
	s_waitcnt lgkmcnt(4)
	v_cndmask_b32_e64 v25, v25, v29, s[6:7]
	;; [unrolled: 3-line block ×3, first 2 shown]
	ds_bpermute_b32 v30, v10, v16 offset:24
	ds_bpermute_b32 v31, v10, v15 offset:24
	s_waitcnt lgkmcnt(4)
	v_cndmask_b32_e64 v26, v26, v27, s[62:63]
	ds_bpermute_b32 v27, v10, v14 offset:24
	s_waitcnt lgkmcnt(4)
	v_cndmask_b32_e64 v26, v26, v28, s[52:53]
	;; [unrolled: 3-line block ×24, first 2 shown]
	s_waitcnt lgkmcnt(3)
	v_cndmask_b32_e64 v26, v26, v31, s[14:15]
	ds_bpermute_b32 v30, v10, v42 offset:24
	ds_bpermute_b32 v31, v10, v43 offset:24
	s_waitcnt lgkmcnt(4)
	v_cndmask_b32_e64 v26, v26, v27, s[16:17]
	s_waitcnt lgkmcnt(3)
	v_cndmask_b32_e64 v26, v26, v28, s[0:1]
	;; [unrolled: 2-line block ×3, first 2 shown]
	ds_bpermute_b32 v27, v10, v44 offset:24
	ds_bpermute_b32 v28, v10, v18 offset:28
	;; [unrolled: 1-line block ×3, first 2 shown]
	s_waitcnt lgkmcnt(4)
	v_cndmask_b32_e64 v26, v26, v30, s[4:5]
	ds_bpermute_b32 v30, v10, v17 offset:28
	s_waitcnt lgkmcnt(4)
	v_cndmask_b32_e64 v26, v26, v31, s[6:7]
	ds_bpermute_b32 v31, v10, v13 offset:28
	ds_bpermute_b32 v32, v10, v16 offset:28
	s_waitcnt lgkmcnt(5)
	v_cndmask_b32_e64 v26, v26, v27, s[28:29]
	s_waitcnt lgkmcnt(3)
	v_cndmask_b32_e64 v27, v28, v29, s[62:63]
	ds_bpermute_b32 v28, v10, v15 offset:28
	ds_bpermute_b32 v29, v10, v14 offset:28
	s_waitcnt lgkmcnt(4)
	v_cndmask_b32_e64 v27, v27, v30, s[52:53]
	ds_bpermute_b32 v30, v10, v11 offset:28
	s_waitcnt lgkmcnt(4)
	v_cndmask_b32_e64 v27, v27, v31, s[54:55]
	;; [unrolled: 3-line block ×24, first 2 shown]
	s_waitcnt lgkmcnt(3)
	v_cndmask_b32_e64 v27, v27, v29, s[16:17]
	ds_bpermute_b32 v28, v10, v43 offset:28
	s_waitcnt lgkmcnt(3)
	v_cndmask_b32_e64 v27, v27, v30, s[0:1]
	ds_bpermute_b32 v29, v10, v44 offset:28
	;; [unrolled: 3-line block ×3, first 2 shown]
	ds_bpermute_b32 v31, v10, v19 offset:32
	s_waitcnt lgkmcnt(4)
	v_cndmask_b32_e64 v27, v27, v32, s[4:5]
	ds_bpermute_b32 v32, v10, v17 offset:32
	ds_bpermute_b32 v33, v10, v13 offset:32
	s_waitcnt lgkmcnt(5)
	v_cndmask_b32_e64 v27, v27, v28, s[6:7]
	s_waitcnt lgkmcnt(4)
	v_cndmask_b32_e64 v27, v27, v29, s[28:29]
	ds_bpermute_b32 v29, v10, v16 offset:32
	s_waitcnt lgkmcnt(3)
	v_cndmask_b32_e64 v28, v30, v31, s[62:63]
	ds_bpermute_b32 v30, v10, v15 offset:32
	ds_bpermute_b32 v31, v10, v14 offset:32
	s_waitcnt lgkmcnt(4)
	v_cndmask_b32_e64 v28, v28, v32, s[52:53]
	ds_bpermute_b32 v32, v10, v11 offset:32
	s_waitcnt lgkmcnt(4)
	v_cndmask_b32_e64 v28, v28, v33, s[54:55]
	;; [unrolled: 3-line block ×23, first 2 shown]
	s_waitcnt lgkmcnt(3)
	v_cndmask_b32_e64 v28, v28, v30, s[14:15]
	ds_bpermute_b32 v29, v10, v42 offset:32
	s_waitcnt lgkmcnt(3)
	v_cndmask_b32_e64 v28, v28, v31, s[16:17]
	ds_bpermute_b32 v30, v10, v43 offset:32
	;; [unrolled: 3-line block ×4, first 2 shown]
	ds_bpermute_b32 v33, v10, v19 offset:36
	ds_bpermute_b32 v39, v10, v17 offset:36
	s_waitcnt lgkmcnt(5)
	v_cndmask_b32_e64 v28, v28, v29, s[4:5]
	s_waitcnt lgkmcnt(4)
	v_cndmask_b32_e64 v28, v28, v30, s[6:7]
	ds_bpermute_b32 v30, v10, v13 offset:36
	s_waitcnt lgkmcnt(4)
	v_cndmask_b32_e64 v28, v28, v31, s[28:29]
	ds_bpermute_b32 v31, v10, v16 offset:36
	;; [unrolled: 3-line block ×3, first 2 shown]
	ds_bpermute_b32 v33, v10, v14 offset:36
	s_waitcnt lgkmcnt(4)
	v_cndmask_b32_e64 v29, v29, v39, s[52:53]
	ds_bpermute_b32 v39, v10, v11 offset:36
	s_waitcnt lgkmcnt(4)
	v_cndmask_b32_e64 v29, v29, v30, s[54:55]
	ds_bpermute_b32 v30, v10, v12 offset:36
	s_waitcnt lgkmcnt(4)
	v_cndmask_b32_e64 v29, v29, v31, s[56:57]
	ds_bpermute_b32 v31, v10, v5 offset:36
	s_waitcnt lgkmcnt(4)
	v_cndmask_b32_e64 v29, v29, v32, s[58:59]
	ds_bpermute_b32 v32, v10, v4 offset:36
	s_waitcnt lgkmcnt(4)
	v_cndmask_b32_e64 v29, v29, v33, s[60:61]
	ds_bpermute_b32 v33, v10, v61 offset:36
	s_waitcnt lgkmcnt(4)
	v_cndmask_b32_e64 v29, v29, v39, s[42:43]
	ds_bpermute_b32 v39, v10, v60 offset:36
	s_waitcnt lgkmcnt(4)
	v_cndmask_b32_e64 v29, v29, v30, s[44:45]
	ds_bpermute_b32 v30, v10, v59 offset:36
	s_waitcnt lgkmcnt(4)
	v_cndmask_b32_e64 v29, v29, v31, s[46:47]
	ds_bpermute_b32 v31, v10, v58 offset:36
	s_waitcnt lgkmcnt(4)
	v_cndmask_b32_e64 v29, v29, v32, s[48:49]
	ds_bpermute_b32 v32, v10, v57 offset:36
	s_waitcnt lgkmcnt(4)
	v_cndmask_b32_e64 v29, v29, v33, s[50:51]
	ds_bpermute_b32 v33, v10, v56 offset:36
	s_waitcnt lgkmcnt(4)
	v_cndmask_b32_e64 v29, v29, v39, s[30:31]
	ds_bpermute_b32 v39, v10, v55 offset:36
	s_waitcnt lgkmcnt(4)
	v_cndmask_b32_e64 v29, v29, v30, s[34:35]
	ds_bpermute_b32 v30, v10, v53 offset:36
	s_waitcnt lgkmcnt(4)
	v_cndmask_b32_e64 v29, v29, v31, s[36:37]
	ds_bpermute_b32 v31, v10, v52 offset:36
	s_waitcnt lgkmcnt(4)
	v_cndmask_b32_e64 v29, v29, v32, s[38:39]
	ds_bpermute_b32 v32, v10, v51 offset:36
	s_waitcnt lgkmcnt(4)
	v_cndmask_b32_e64 v29, v29, v33, s[40:41]
	ds_bpermute_b32 v33, v10, v50 offset:36
	s_waitcnt lgkmcnt(4)
	v_cndmask_b32_e64 v29, v29, v39, s[18:19]
	ds_bpermute_b32 v39, v10, v45 offset:36
	s_waitcnt lgkmcnt(4)
	v_cndmask_b32_e64 v29, v29, v30, s[20:21]
	ds_bpermute_b32 v30, v10, v46 offset:36
	s_waitcnt lgkmcnt(4)
	v_cndmask_b32_e64 v29, v29, v31, s[22:23]
	ds_bpermute_b32 v31, v10, v47 offset:36
	s_waitcnt lgkmcnt(4)
	v_cndmask_b32_e64 v29, v29, v32, s[24:25]
	ds_bpermute_b32 v32, v10, v48 offset:36
	s_waitcnt lgkmcnt(4)
	v_cndmask_b32_e64 v29, v29, v33, s[26:27]
	ds_bpermute_b32 v33, v10, v49 offset:36
	s_waitcnt lgkmcnt(4)
	v_cndmask_b32_e64 v29, v29, v39, s[8:9]
	ds_bpermute_b32 v39, v10, v40 offset:36
	s_waitcnt lgkmcnt(4)
	v_cndmask_b32_e64 v29, v29, v30, s[10:11]
	ds_bpermute_b32 v30, v10, v41 offset:36
	s_waitcnt lgkmcnt(4)
	v_cndmask_b32_e64 v29, v29, v31, s[12:13]
	ds_bpermute_b32 v31, v10, v42 offset:36
	s_waitcnt lgkmcnt(4)
	v_cndmask_b32_e64 v29, v29, v32, s[14:15]
	ds_bpermute_b32 v32, v10, v43 offset:36
	s_waitcnt lgkmcnt(4)
	v_cndmask_b32_e64 v29, v29, v33, s[16:17]
	ds_bpermute_b32 v33, v10, v44 offset:36
	s_waitcnt lgkmcnt(4)
	v_cndmask_b32_e64 v29, v29, v39, s[0:1]
	ds_bpermute_b32 v39, v10, v18 offset:40
	ds_bpermute_b32 v54, v10, v19 offset:40
	s_waitcnt lgkmcnt(5)
	v_cndmask_b32_e64 v29, v29, v30, s[2:3]
	s_waitcnt lgkmcnt(4)
	v_cndmask_b32_e64 v29, v29, v31, s[4:5]
	ds_bpermute_b32 v31, v10, v17 offset:40
	s_waitcnt lgkmcnt(4)
	v_cndmask_b32_e64 v29, v29, v32, s[6:7]
	ds_bpermute_b32 v32, v10, v13 offset:40
	;; [unrolled: 3-line block ×4, first 2 shown]
	ds_bpermute_b32 v54, v10, v14 offset:40
	s_waitcnt lgkmcnt(4)
	v_cndmask_b32_e64 v30, v30, v31, s[52:53]
	ds_bpermute_b32 v31, v10, v11 offset:40
	s_waitcnt lgkmcnt(4)
	v_cndmask_b32_e64 v30, v30, v32, s[54:55]
	;; [unrolled: 3-line block ×26, first 2 shown]
	s_waitcnt lgkmcnt(3)
	v_cndmask_b32_e64 v30, v30, v32, s[2:3]
	ds_bpermute_b32 v31, v10, v18 offset:44
	ds_bpermute_b32 v32, v10, v19 offset:44
	s_waitcnt lgkmcnt(4)
	v_cndmask_b32_e64 v30, v30, v33, s[4:5]
	ds_bpermute_b32 v33, v10, v17 offset:44
	s_waitcnt lgkmcnt(4)
	v_cndmask_b32_e64 v30, v30, v39, s[6:7]
	;; [unrolled: 3-line block ×3, first 2 shown]
	ds_bpermute_b32 v54, v10, v16 offset:44
	ds_bpermute_b32 v62, v10, v15 offset:44
	s_waitcnt lgkmcnt(4)
	v_cndmask_b32_e64 v31, v31, v32, s[62:63]
	ds_bpermute_b32 v32, v10, v14 offset:44
	s_waitcnt lgkmcnt(4)
	v_cndmask_b32_e64 v31, v31, v33, s[52:53]
	;; [unrolled: 3-line block ×24, first 2 shown]
	s_waitcnt lgkmcnt(3)
	v_cndmask_b32_e64 v31, v31, v62, s[14:15]
	ds_bpermute_b32 v54, v10, v42 offset:44
	ds_bpermute_b32 v62, v10, v43 offset:44
	s_waitcnt lgkmcnt(4)
	v_cndmask_b32_e64 v31, v31, v32, s[16:17]
	s_waitcnt lgkmcnt(3)
	v_cndmask_b32_e64 v31, v31, v33, s[0:1]
	;; [unrolled: 2-line block ×3, first 2 shown]
	ds_bpermute_b32 v32, v10, v44 offset:44
	ds_bpermute_b32 v33, v10, v18 offset:48
	;; [unrolled: 1-line block ×3, first 2 shown]
	s_waitcnt lgkmcnt(4)
	v_cndmask_b32_e64 v31, v31, v54, s[4:5]
	ds_bpermute_b32 v54, v10, v17 offset:48
	s_waitcnt lgkmcnt(4)
	v_cndmask_b32_e64 v31, v31, v62, s[6:7]
	ds_bpermute_b32 v62, v10, v13 offset:48
	ds_bpermute_b32 v63, v10, v16 offset:48
	s_waitcnt lgkmcnt(5)
	v_cndmask_b32_e64 v31, v31, v32, s[28:29]
	s_waitcnt lgkmcnt(3)
	v_cndmask_b32_e64 v32, v33, v39, s[62:63]
	ds_bpermute_b32 v33, v10, v15 offset:48
	ds_bpermute_b32 v39, v10, v14 offset:48
	s_waitcnt lgkmcnt(4)
	v_cndmask_b32_e64 v32, v32, v54, s[52:53]
	ds_bpermute_b32 v54, v10, v11 offset:48
	s_waitcnt lgkmcnt(4)
	v_cndmask_b32_e64 v32, v32, v62, s[54:55]
	;; [unrolled: 3-line block ×24, first 2 shown]
	s_waitcnt lgkmcnt(3)
	v_cndmask_b32_e64 v32, v32, v39, s[16:17]
	ds_bpermute_b32 v33, v10, v43 offset:48
	s_waitcnt lgkmcnt(3)
	v_cndmask_b32_e64 v32, v32, v54, s[0:1]
	ds_bpermute_b32 v39, v10, v44 offset:48
	s_waitcnt lgkmcnt(3)
	v_cndmask_b32_e64 v32, v32, v62, s[2:3]
	ds_bpermute_b32 v54, v10, v18 offset:52
	ds_bpermute_b32 v62, v10, v19 offset:52
	s_waitcnt lgkmcnt(4)
	v_cndmask_b32_e64 v32, v32, v63, s[4:5]
	ds_bpermute_b32 v63, v10, v17 offset:52
	ds_bpermute_b32 v64, v10, v13 offset:52
	s_waitcnt lgkmcnt(5)
	v_cndmask_b32_e64 v32, v32, v33, s[6:7]
	s_waitcnt lgkmcnt(4)
	v_cndmask_b32_e64 v32, v32, v39, s[28:29]
	ds_bpermute_b32 v39, v10, v16 offset:52
	s_waitcnt lgkmcnt(3)
	v_cndmask_b32_e64 v33, v54, v62, s[62:63]
	ds_bpermute_b32 v54, v10, v15 offset:52
	ds_bpermute_b32 v62, v10, v14 offset:52
	s_waitcnt lgkmcnt(4)
	v_cndmask_b32_e64 v33, v33, v63, s[52:53]
	ds_bpermute_b32 v63, v10, v11 offset:52
	s_waitcnt lgkmcnt(4)
	v_cndmask_b32_e64 v33, v33, v64, s[54:55]
	;; [unrolled: 3-line block ×23, first 2 shown]
	s_waitcnt lgkmcnt(3)
	v_cndmask_b32_e64 v33, v33, v54, s[14:15]
	ds_bpermute_b32 v39, v10, v42 offset:52
	s_waitcnt lgkmcnt(3)
	v_cndmask_b32_e64 v33, v33, v62, s[16:17]
	ds_bpermute_b32 v54, v10, v43 offset:52
	;; [unrolled: 3-line block ×4, first 2 shown]
	ds_bpermute_b32 v64, v10, v19 offset:56
	ds_bpermute_b32 v65, v10, v17 offset:56
	s_waitcnt lgkmcnt(5)
	v_cndmask_b32_e64 v33, v33, v39, s[4:5]
	s_waitcnt lgkmcnt(4)
	v_cndmask_b32_e64 v33, v33, v54, s[6:7]
	ds_bpermute_b32 v54, v10, v13 offset:56
	s_waitcnt lgkmcnt(4)
	v_cndmask_b32_e64 v33, v33, v62, s[28:29]
	ds_bpermute_b32 v62, v10, v16 offset:56
	;; [unrolled: 3-line block ×3, first 2 shown]
	ds_bpermute_b32 v64, v10, v14 offset:56
	s_waitcnt lgkmcnt(4)
	v_cndmask_b32_e64 v39, v39, v65, s[52:53]
	ds_bpermute_b32 v65, v10, v11 offset:56
	s_waitcnt lgkmcnt(4)
	v_cndmask_b32_e64 v39, v39, v54, s[54:55]
	;; [unrolled: 3-line block ×26, first 2 shown]
	ds_bpermute_b32 v65, v10, v18 offset:60
	ds_bpermute_b32 v66, v10, v19 offset:60
	s_waitcnt lgkmcnt(5)
	v_cndmask_b32_e64 v39, v39, v54, s[2:3]
	s_waitcnt lgkmcnt(4)
	v_cndmask_b32_e64 v39, v39, v62, s[4:5]
	ds_bpermute_b32 v62, v10, v17 offset:60
	s_waitcnt lgkmcnt(4)
	v_cndmask_b32_e64 v39, v39, v63, s[6:7]
	ds_bpermute_b32 v63, v10, v13 offset:60
	;; [unrolled: 3-line block ×4, first 2 shown]
	ds_bpermute_b32 v66, v10, v14 offset:60
	s_waitcnt lgkmcnt(4)
	v_cndmask_b32_e64 v54, v54, v62, s[52:53]
	ds_bpermute_b32 v62, v10, v11 offset:60
	s_waitcnt lgkmcnt(4)
	v_cndmask_b32_e64 v54, v54, v63, s[54:55]
	;; [unrolled: 3-line block ×26, first 2 shown]
	s_waitcnt lgkmcnt(3)
	v_cndmask_b32_e64 v54, v54, v63, s[2:3]
	ds_bpermute_b32 v62, v10, v18 offset:64
	ds_bpermute_b32 v63, v10, v19 offset:64
	s_waitcnt lgkmcnt(4)
	v_cndmask_b32_e64 v54, v54, v64, s[4:5]
	ds_bpermute_b32 v64, v10, v17 offset:64
	s_waitcnt lgkmcnt(4)
	v_cndmask_b32_e64 v54, v54, v65, s[6:7]
	;; [unrolled: 3-line block ×3, first 2 shown]
	ds_bpermute_b32 v66, v10, v16 offset:64
	ds_bpermute_b32 v67, v10, v15 offset:64
	s_waitcnt lgkmcnt(4)
	v_cndmask_b32_e64 v62, v62, v63, s[62:63]
	ds_bpermute_b32 v63, v10, v14 offset:64
	s_waitcnt lgkmcnt(4)
	v_cndmask_b32_e64 v62, v62, v64, s[52:53]
	;; [unrolled: 3-line block ×24, first 2 shown]
	s_waitcnt lgkmcnt(3)
	v_cndmask_b32_e64 v62, v62, v67, s[14:15]
	ds_bpermute_b32 v66, v10, v42 offset:64
	s_waitcnt lgkmcnt(3)
	v_cndmask_b32_e64 v62, v62, v63, s[16:17]
	ds_bpermute_b32 v67, v10, v43 offset:64
	s_waitcnt lgkmcnt(3)
	v_cndmask_b32_e64 v62, v62, v64, s[0:1]
	s_waitcnt lgkmcnt(2)
	v_cndmask_b32_e64 v62, v62, v65, s[2:3]
	ds_bpermute_b32 v63, v10, v44 offset:64
	ds_bpermute_b32 v64, v10, v18 offset:68
	;; [unrolled: 1-line block ×3, first 2 shown]
	s_waitcnt lgkmcnt(4)
	v_cndmask_b32_e64 v62, v62, v66, s[4:5]
	ds_bpermute_b32 v66, v10, v17 offset:68
	s_waitcnt lgkmcnt(4)
	v_cndmask_b32_e64 v62, v62, v67, s[6:7]
	ds_bpermute_b32 v67, v10, v13 offset:68
	s_waitcnt lgkmcnt(4)
	v_cndmask_b32_e64 v62, v62, v63, s[28:29]
	s_waitcnt lgkmcnt(2)
	v_cndmask_b32_e64 v63, v64, v65, s[62:63]
	ds_bpermute_b32 v64, v10, v16 offset:68
	ds_bpermute_b32 v65, v10, v15 offset:68
	s_waitcnt lgkmcnt(3)
	v_cndmask_b32_e64 v63, v63, v66, s[52:53]
	ds_bpermute_b32 v66, v10, v14 offset:68
	s_waitcnt lgkmcnt(3)
	v_cndmask_b32_e64 v63, v63, v67, s[54:55]
	;; [unrolled: 3-line block ×25, first 2 shown]
	s_waitcnt lgkmcnt(2)
	v_cndmask_b32_e64 v63, v63, v67, s[0:1]
	ds_bpermute_b32 v66, v10, v43 offset:68
	ds_bpermute_b32 v67, v10, v44 offset:68
	s_waitcnt lgkmcnt(3)
	v_cndmask_b32_e64 v63, v63, v64, s[2:3]
	s_waitcnt lgkmcnt(2)
	v_cndmask_b32_e64 v63, v63, v65, s[4:5]
	ds_bpermute_b32 v64, v10, v18 offset:72
	ds_bpermute_b32 v65, v10, v19 offset:72
	s_waitcnt lgkmcnt(3)
	v_cndmask_b32_e64 v63, v63, v66, s[6:7]
	ds_bpermute_b32 v66, v10, v17 offset:72
	s_waitcnt lgkmcnt(3)
	v_cndmask_b32_e64 v63, v63, v67, s[28:29]
	;; [unrolled: 3-line block ×28, first 2 shown]
	ds_bpermute_b32 v66, v10, v42 offset:72
	ds_bpermute_b32 v68, v10, v43 offset:72
	s_waitcnt lgkmcnt(3)
	v_cndmask_b32_e64 v64, v64, v67, s[0:1]
	s_waitcnt lgkmcnt(2)
	v_cndmask_b32_e64 v64, v64, v65, s[2:3]
	ds_bpermute_b32 v65, v10, v44 offset:72
	s_waitcnt lgkmcnt(2)
	v_cndmask_b32_e64 v64, v64, v66, s[4:5]
	ds_bpermute_b32 v66, v10, v18 offset:76
	ds_bpermute_b32 v67, v10, v19 offset:76
	s_waitcnt lgkmcnt(3)
	v_cndmask_b32_e64 v64, v64, v68, s[6:7]
	s_waitcnt lgkmcnt(2)
	v_cndmask_b32_e64 v64, v64, v65, s[28:29]
	ds_bpermute_b32 v65, v10, v17 offset:76
	ds_bpermute_b32 v68, v10, v13 offset:76
	ds_bpermute_b32 v69, v10, v16 offset:76
	s_waitcnt lgkmcnt(3)
	v_cndmask_b32_e64 v66, v66, v67, s[62:63]
	ds_bpermute_b32 v67, v10, v15 offset:76
	s_waitcnt lgkmcnt(3)
	v_cndmask_b32_e64 v65, v66, v65, s[52:53]
	s_waitcnt lgkmcnt(2)
	v_cndmask_b32_e64 v65, v65, v68, s[54:55]
	ds_bpermute_b32 v66, v10, v14 offset:76
	s_waitcnt lgkmcnt(2)
	v_cndmask_b32_e64 v65, v65, v69, s[56:57]
	s_waitcnt lgkmcnt(1)
	v_cndmask_b32_e64 v65, v65, v67, s[58:59]
	ds_bpermute_b32 v67, v10, v11 offset:76
	ds_bpermute_b32 v68, v10, v12 offset:76
	ds_bpermute_b32 v69, v10, v5 offset:76
	s_waitcnt lgkmcnt(3)
	v_cndmask_b32_e64 v65, v65, v66, s[60:61]
	ds_bpermute_b32 v66, v10, v4 offset:76
	s_waitcnt lgkmcnt(3)
	v_cndmask_b32_e64 v65, v65, v67, s[42:43]
	s_waitcnt lgkmcnt(2)
	v_cndmask_b32_e64 v65, v65, v68, s[44:45]
	ds_bpermute_b32 v67, v10, v61 offset:76
	s_waitcnt lgkmcnt(2)
	v_cndmask_b32_e64 v65, v65, v69, s[46:47]
	s_waitcnt lgkmcnt(1)
	v_cndmask_b32_e64 v65, v65, v66, s[48:49]
	ds_bpermute_b32 v66, v10, v60 offset:76
	ds_bpermute_b32 v68, v10, v59 offset:76
	ds_bpermute_b32 v69, v10, v58 offset:76
	s_waitcnt lgkmcnt(3)
	v_cndmask_b32_e64 v65, v65, v67, s[50:51]
	ds_bpermute_b32 v67, v10, v57 offset:76
	s_waitcnt lgkmcnt(3)
	v_cndmask_b32_e64 v65, v65, v66, s[30:31]
	s_waitcnt lgkmcnt(2)
	v_cndmask_b32_e64 v65, v65, v68, s[34:35]
	ds_bpermute_b32 v66, v10, v56 offset:76
	s_waitcnt lgkmcnt(2)
	v_cndmask_b32_e64 v65, v65, v69, s[36:37]
	s_waitcnt lgkmcnt(1)
	v_cndmask_b32_e64 v65, v65, v67, s[38:39]
	ds_bpermute_b32 v67, v10, v55 offset:76
	ds_bpermute_b32 v68, v10, v53 offset:76
	ds_bpermute_b32 v69, v10, v52 offset:76
	s_waitcnt lgkmcnt(3)
	v_cndmask_b32_e64 v65, v65, v66, s[40:41]
	ds_bpermute_b32 v66, v10, v51 offset:76
	s_waitcnt lgkmcnt(3)
	v_cndmask_b32_e64 v65, v65, v67, s[18:19]
	s_waitcnt lgkmcnt(2)
	v_cndmask_b32_e64 v65, v65, v68, s[20:21]
	ds_bpermute_b32 v67, v10, v50 offset:76
	s_waitcnt lgkmcnt(2)
	v_cndmask_b32_e64 v65, v65, v69, s[22:23]
	s_waitcnt lgkmcnt(1)
	v_cndmask_b32_e64 v65, v65, v66, s[24:25]
	ds_bpermute_b32 v66, v10, v45 offset:76
	ds_bpermute_b32 v68, v10, v46 offset:76
	ds_bpermute_b32 v69, v10, v47 offset:76
	s_waitcnt lgkmcnt(3)
	v_cndmask_b32_e64 v65, v65, v67, s[26:27]
	ds_bpermute_b32 v67, v10, v48 offset:76
	s_waitcnt lgkmcnt(3)
	v_cndmask_b32_e64 v65, v65, v66, s[8:9]
	s_waitcnt lgkmcnt(2)
	v_cndmask_b32_e64 v65, v65, v68, s[10:11]
	ds_bpermute_b32 v66, v10, v49 offset:76
	s_waitcnt lgkmcnt(2)
	v_cndmask_b32_e64 v65, v65, v69, s[12:13]
	s_waitcnt lgkmcnt(1)
	v_cndmask_b32_e64 v65, v65, v67, s[14:15]
	ds_bpermute_b32 v67, v10, v40 offset:76
	ds_bpermute_b32 v68, v10, v41 offset:76
	ds_bpermute_b32 v69, v10, v42 offset:76
	s_waitcnt lgkmcnt(3)
	v_cndmask_b32_e64 v65, v65, v66, s[16:17]
	ds_bpermute_b32 v66, v10, v43 offset:76
	s_waitcnt lgkmcnt(3)
	v_cndmask_b32_e64 v65, v65, v67, s[0:1]
	s_waitcnt lgkmcnt(2)
	v_cndmask_b32_e64 v65, v65, v68, s[2:3]
	s_waitcnt lgkmcnt(1)
	v_cndmask_b32_e64 v65, v65, v69, s[4:5]
	ds_bpermute_b32 v67, v10, v44 offset:76
	s_waitcnt lgkmcnt(1)
	v_cndmask_b32_e64 v65, v65, v66, s[6:7]
	ds_bpermute_b32 v66, v10, v18 offset:80
	ds_bpermute_b32 v68, v10, v19 offset:80
	;; [unrolled: 1-line block ×5, first 2 shown]
	s_waitcnt lgkmcnt(5)
	v_cndmask_b32_e64 v65, v65, v67, s[28:29]
	ds_bpermute_b32 v67, v10, v15 offset:80
	s_waitcnt lgkmcnt(4)
	v_cndmask_b32_e64 v66, v66, v68, s[62:63]
	ds_bpermute_b32 v68, v10, v14 offset:80
	s_waitcnt lgkmcnt(4)
	v_cndmask_b32_e64 v66, v66, v69, s[52:53]
	ds_bpermute_b32 v69, v10, v11 offset:80
	s_waitcnt lgkmcnt(4)
	v_cndmask_b32_e64 v66, v66, v70, s[54:55]
	ds_bpermute_b32 v70, v10, v12 offset:80
	s_waitcnt lgkmcnt(4)
	v_cndmask_b32_e64 v66, v66, v71, s[56:57]
	ds_bpermute_b32 v71, v10, v5 offset:80
	s_waitcnt lgkmcnt(4)
	v_cndmask_b32_e64 v66, v66, v67, s[58:59]
	ds_bpermute_b32 v67, v10, v4 offset:80
	s_waitcnt lgkmcnt(4)
	v_cndmask_b32_e64 v66, v66, v68, s[60:61]
	ds_bpermute_b32 v68, v10, v61 offset:80
	s_waitcnt lgkmcnt(4)
	v_cndmask_b32_e64 v66, v66, v69, s[42:43]
	ds_bpermute_b32 v69, v10, v60 offset:80
	s_waitcnt lgkmcnt(4)
	v_cndmask_b32_e64 v66, v66, v70, s[44:45]
	ds_bpermute_b32 v70, v10, v59 offset:80
	s_waitcnt lgkmcnt(4)
	v_cndmask_b32_e64 v66, v66, v71, s[46:47]
	ds_bpermute_b32 v71, v10, v58 offset:80
	s_waitcnt lgkmcnt(4)
	v_cndmask_b32_e64 v66, v66, v67, s[48:49]
	ds_bpermute_b32 v67, v10, v57 offset:80
	s_waitcnt lgkmcnt(4)
	v_cndmask_b32_e64 v66, v66, v68, s[50:51]
	ds_bpermute_b32 v68, v10, v56 offset:80
	s_waitcnt lgkmcnt(4)
	v_cndmask_b32_e64 v66, v66, v69, s[30:31]
	ds_bpermute_b32 v69, v10, v55 offset:80
	s_waitcnt lgkmcnt(4)
	v_cndmask_b32_e64 v66, v66, v70, s[34:35]
	ds_bpermute_b32 v70, v10, v53 offset:80
	s_waitcnt lgkmcnt(4)
	v_cndmask_b32_e64 v66, v66, v71, s[36:37]
	ds_bpermute_b32 v71, v10, v52 offset:80
	s_waitcnt lgkmcnt(4)
	v_cndmask_b32_e64 v66, v66, v67, s[38:39]
	ds_bpermute_b32 v67, v10, v51 offset:80
	s_waitcnt lgkmcnt(4)
	v_cndmask_b32_e64 v66, v66, v68, s[40:41]
	ds_bpermute_b32 v68, v10, v50 offset:80
	s_waitcnt lgkmcnt(4)
	v_cndmask_b32_e64 v66, v66, v69, s[18:19]
	ds_bpermute_b32 v69, v10, v45 offset:80
	s_waitcnt lgkmcnt(4)
	v_cndmask_b32_e64 v66, v66, v70, s[20:21]
	ds_bpermute_b32 v70, v10, v46 offset:80
	s_waitcnt lgkmcnt(4)
	v_cndmask_b32_e64 v66, v66, v71, s[22:23]
	ds_bpermute_b32 v71, v10, v47 offset:80
	s_waitcnt lgkmcnt(4)
	v_cndmask_b32_e64 v66, v66, v67, s[24:25]
	ds_bpermute_b32 v67, v10, v48 offset:80
	s_waitcnt lgkmcnt(4)
	v_cndmask_b32_e64 v66, v66, v68, s[26:27]
	ds_bpermute_b32 v68, v10, v49 offset:80
	s_waitcnt lgkmcnt(4)
	v_cndmask_b32_e64 v66, v66, v69, s[8:9]
	ds_bpermute_b32 v69, v10, v40 offset:80
	s_waitcnt lgkmcnt(4)
	v_cndmask_b32_e64 v66, v66, v70, s[10:11]
	ds_bpermute_b32 v70, v10, v41 offset:80
	s_waitcnt lgkmcnt(4)
	v_cndmask_b32_e64 v66, v66, v71, s[12:13]
	ds_bpermute_b32 v71, v10, v42 offset:80
	s_waitcnt lgkmcnt(4)
	v_cndmask_b32_e64 v66, v66, v67, s[14:15]
	s_waitcnt lgkmcnt(3)
	v_cndmask_b32_e64 v66, v66, v68, s[16:17]
	ds_bpermute_b32 v67, v10, v43 offset:80
	s_waitcnt lgkmcnt(3)
	v_cndmask_b32_e64 v66, v66, v69, s[0:1]
	ds_bpermute_b32 v68, v10, v44 offset:80
	;; [unrolled: 3-line block ×3, first 2 shown]
	ds_bpermute_b32 v70, v10, v19 offset:84
	s_waitcnt lgkmcnt(4)
	v_cndmask_b32_e64 v66, v66, v71, s[4:5]
	ds_bpermute_b32 v71, v10, v17 offset:84
	ds_bpermute_b32 v72, v10, v13 offset:84
	s_waitcnt lgkmcnt(5)
	v_cndmask_b32_e64 v66, v66, v67, s[6:7]
	s_waitcnt lgkmcnt(4)
	v_cndmask_b32_e64 v66, v66, v68, s[28:29]
	ds_bpermute_b32 v68, v10, v16 offset:84
	s_waitcnt lgkmcnt(3)
	v_cndmask_b32_e64 v67, v69, v70, s[62:63]
	ds_bpermute_b32 v69, v10, v15 offset:84
	ds_bpermute_b32 v70, v10, v14 offset:84
	s_waitcnt lgkmcnt(4)
	v_cndmask_b32_e64 v67, v67, v71, s[52:53]
	ds_bpermute_b32 v71, v10, v11 offset:84
	s_waitcnt lgkmcnt(4)
	v_cndmask_b32_e64 v67, v67, v72, s[54:55]
	;; [unrolled: 3-line block ×23, first 2 shown]
	s_waitcnt lgkmcnt(3)
	v_cndmask_b32_e64 v67, v67, v69, s[14:15]
	ds_bpermute_b32 v68, v10, v42 offset:84
	s_waitcnt lgkmcnt(3)
	v_cndmask_b32_e64 v67, v67, v70, s[16:17]
	ds_bpermute_b32 v69, v10, v43 offset:84
	;; [unrolled: 3-line block ×4, first 2 shown]
	ds_bpermute_b32 v72, v10, v19 offset:88
	ds_bpermute_b32 v73, v10, v17 offset:88
	s_waitcnt lgkmcnt(5)
	v_cndmask_b32_e64 v67, v67, v68, s[4:5]
	s_waitcnt lgkmcnt(4)
	v_cndmask_b32_e64 v67, v67, v69, s[6:7]
	ds_bpermute_b32 v69, v10, v13 offset:88
	s_waitcnt lgkmcnt(4)
	v_cndmask_b32_e64 v67, v67, v70, s[28:29]
	ds_bpermute_b32 v70, v10, v16 offset:88
	;; [unrolled: 3-line block ×3, first 2 shown]
	ds_bpermute_b32 v72, v10, v14 offset:88
	s_waitcnt lgkmcnt(4)
	v_cndmask_b32_e64 v68, v68, v73, s[52:53]
	ds_bpermute_b32 v73, v10, v11 offset:88
	s_waitcnt lgkmcnt(4)
	v_cndmask_b32_e64 v68, v68, v69, s[54:55]
	;; [unrolled: 3-line block ×26, first 2 shown]
	ds_bpermute_b32 v73, v10, v18 offset:92
	ds_bpermute_b32 v74, v10, v19 offset:92
	s_waitcnt lgkmcnt(5)
	v_cndmask_b32_e64 v68, v68, v69, s[2:3]
	s_waitcnt lgkmcnt(4)
	v_cndmask_b32_e64 v68, v68, v70, s[4:5]
	ds_bpermute_b32 v70, v10, v17 offset:92
	s_waitcnt lgkmcnt(4)
	v_cndmask_b32_e64 v68, v68, v71, s[6:7]
	ds_bpermute_b32 v71, v10, v13 offset:92
	;; [unrolled: 3-line block ×4, first 2 shown]
	ds_bpermute_b32 v74, v10, v14 offset:92
	s_waitcnt lgkmcnt(4)
	v_cndmask_b32_e64 v69, v69, v70, s[52:53]
	ds_bpermute_b32 v70, v10, v11 offset:92
	s_waitcnt lgkmcnt(4)
	v_cndmask_b32_e64 v69, v69, v71, s[54:55]
	;; [unrolled: 3-line block ×26, first 2 shown]
	s_waitcnt lgkmcnt(3)
	v_cndmask_b32_e64 v69, v69, v71, s[2:3]
	ds_bpermute_b32 v70, v10, v18 offset:96
	ds_bpermute_b32 v71, v10, v19 offset:96
	s_waitcnt lgkmcnt(4)
	v_cndmask_b32_e64 v69, v69, v72, s[4:5]
	ds_bpermute_b32 v72, v10, v17 offset:96
	s_waitcnt lgkmcnt(4)
	v_cndmask_b32_e64 v69, v69, v73, s[6:7]
	;; [unrolled: 3-line block ×3, first 2 shown]
	ds_bpermute_b32 v74, v10, v16 offset:96
	ds_bpermute_b32 v75, v10, v15 offset:96
	s_waitcnt lgkmcnt(4)
	v_cndmask_b32_e64 v70, v70, v71, s[62:63]
	ds_bpermute_b32 v71, v10, v14 offset:96
	s_waitcnt lgkmcnt(4)
	v_cndmask_b32_e64 v70, v70, v72, s[52:53]
	;; [unrolled: 3-line block ×24, first 2 shown]
	s_waitcnt lgkmcnt(3)
	v_cndmask_b32_e64 v70, v70, v75, s[14:15]
	ds_bpermute_b32 v74, v10, v42 offset:96
	ds_bpermute_b32 v75, v10, v43 offset:96
	s_waitcnt lgkmcnt(4)
	v_cndmask_b32_e64 v70, v70, v71, s[16:17]
	s_waitcnt lgkmcnt(3)
	v_cndmask_b32_e64 v70, v70, v72, s[0:1]
	;; [unrolled: 2-line block ×3, first 2 shown]
	ds_bpermute_b32 v71, v10, v44 offset:96
	ds_bpermute_b32 v72, v10, v18 offset:100
	;; [unrolled: 1-line block ×3, first 2 shown]
	s_waitcnt lgkmcnt(4)
	v_cndmask_b32_e64 v70, v70, v74, s[4:5]
	ds_bpermute_b32 v74, v10, v17 offset:100
	s_waitcnt lgkmcnt(4)
	v_cndmask_b32_e64 v70, v70, v75, s[6:7]
	ds_bpermute_b32 v75, v10, v13 offset:100
	s_waitcnt lgkmcnt(4)
	v_cndmask_b32_e64 v70, v70, v71, s[28:29]
	s_waitcnt lgkmcnt(2)
	v_cndmask_b32_e64 v71, v72, v73, s[62:63]
	ds_bpermute_b32 v72, v10, v16 offset:100
	ds_bpermute_b32 v73, v10, v15 offset:100
	s_waitcnt lgkmcnt(3)
	v_cndmask_b32_e64 v71, v71, v74, s[52:53]
	ds_bpermute_b32 v74, v10, v14 offset:100
	s_waitcnt lgkmcnt(3)
	v_cndmask_b32_e64 v71, v71, v75, s[54:55]
	;; [unrolled: 3-line block ×27, first 2 shown]
	s_waitcnt lgkmcnt(2)
	v_cndmask_b32_e64 v71, v71, v73, s[4:5]
	ds_bpermute_b32 v72, v10, v18 offset:104
	ds_bpermute_b32 v73, v10, v19 offset:104
	s_waitcnt lgkmcnt(3)
	v_cndmask_b32_e64 v71, v71, v74, s[6:7]
	ds_bpermute_b32 v74, v10, v17 offset:104
	s_waitcnt lgkmcnt(3)
	v_cndmask_b32_e64 v71, v71, v75, s[28:29]
	;; [unrolled: 3-line block ×33, first 2 shown]
	ds_bpermute_b32 v76, v10, v19 offset:116
	ds_bpermute_b32 v77, v10, v19 offset:120
	;; [unrolled: 1-line block ×3, first 2 shown]
	s_waitcnt lgkmcnt(3)
	v_cndmask_b32_e64 v73, v74, v75, s[62:63]
	ds_bpermute_b32 v74, v10, v17 offset:108
	ds_bpermute_b32 v75, v10, v13 offset:108
	s_waitcnt lgkmcnt(1)
	v_cndmask_b32_e64 v73, v73, v74, s[52:53]
	ds_bpermute_b32 v74, v10, v16 offset:108
	s_waitcnt lgkmcnt(1)
	v_cndmask_b32_e64 v73, v73, v75, s[54:55]
	;; [unrolled: 3-line block ×102, first 2 shown]
	ds_bpermute_b32 v77, v10, v61 offset:120
	ds_bpermute_b32 v61, v10, v61 offset:124
	s_waitcnt lgkmcnt(1)
	v_cndmask_b32_e64 v76, v76, v77, s[50:51]
	ds_bpermute_b32 v77, v10, v60 offset:120
	ds_bpermute_b32 v60, v10, v60 offset:124
	s_waitcnt lgkmcnt(1)
	v_cndmask_b32_e64 v76, v76, v77, s[30:31]
	;; [unrolled: 4-line block ×21, first 2 shown]
	ds_bpermute_b32 v77, v10, v18 offset:124
	s_waitcnt lgkmcnt(0)
	v_cndmask_b32_e64 v77, v77, v78, s[62:63]
	ds_bpermute_b32 v78, v10, v17 offset:124
	s_waitcnt lgkmcnt(0)
	v_cndmask_b32_e64 v77, v77, v78, s[52:53]
	;; [unrolled: 3-line block ×10, first 2 shown]
	v_cndmask_b32_e64 v61, v77, v61, s[50:51]
	v_cndmask_b32_e64 v60, v61, v60, s[30:31]
	;; [unrolled: 1-line block ×21, first 2 shown]
	s_cbranch_execz .LBB3_3
	s_branch .LBB3_4
.LBB3_2:
                                        ; implicit-def: $vgpr76
                                        ; implicit-def: $vgpr75
                                        ; implicit-def: $vgpr74
                                        ; implicit-def: $vgpr73
                                        ; implicit-def: $vgpr72
                                        ; implicit-def: $vgpr71
                                        ; implicit-def: $vgpr70
                                        ; implicit-def: $vgpr69
                                        ; implicit-def: $vgpr68
                                        ; implicit-def: $vgpr67
                                        ; implicit-def: $vgpr66
                                        ; implicit-def: $vgpr65
                                        ; implicit-def: $vgpr64
                                        ; implicit-def: $vgpr63
                                        ; implicit-def: $vgpr62
                                        ; implicit-def: $vgpr54
                                        ; implicit-def: $vgpr39
                                        ; implicit-def: $vgpr33
                                        ; implicit-def: $vgpr32
                                        ; implicit-def: $vgpr31
                                        ; implicit-def: $vgpr30
                                        ; implicit-def: $vgpr29
                                        ; implicit-def: $vgpr28
                                        ; implicit-def: $vgpr27
                                        ; implicit-def: $vgpr26
                                        ; implicit-def: $vgpr25
                                        ; implicit-def: $vgpr24
                                        ; implicit-def: $vgpr23
                                        ; implicit-def: $vgpr22
                                        ; implicit-def: $vgpr21
                                        ; implicit-def: $vgpr20
                                        ; implicit-def: $vgpr40
.LBB3_3:
	ds_bpermute_b32 v20, v10, v18
	ds_bpermute_b32 v21, v10, v19
	s_mov_b32 s33, 0xffff
	s_movk_i32 s64, 0xff
	v_and_b32_e32 v50, 0xff, v7
	v_and_b32_e32 v49, 0xff, v38
	v_and_b32_sdwa v48, v7, s64 dst_sel:DWORD dst_unused:UNUSED_PAD src0_sel:WORD_1 src1_sel:DWORD
	v_and_b32_sdwa v47, s33, v7 dst_sel:DWORD dst_unused:UNUSED_PAD src0_sel:DWORD src1_sel:BYTE_3
	v_and_b32_e32 v46, 0xff, v0
	v_and_b32_e32 v45, 0xff, v37
	v_and_b32_sdwa v44, v0, s64 dst_sel:DWORD dst_unused:UNUSED_PAD src0_sel:WORD_1 src1_sel:DWORD
	v_and_b32_sdwa v43, s33, v0 dst_sel:DWORD dst_unused:UNUSED_PAD src0_sel:DWORD src1_sel:BYTE_3
	v_and_b32_e32 v42, 0xff, v1
	v_and_b32_e32 v41, 0xff, v36
	v_and_b32_sdwa v40, v1, s64 dst_sel:DWORD dst_unused:UNUSED_PAD src0_sel:WORD_1 src1_sel:DWORD
	v_and_b32_sdwa v38, s33, v1 dst_sel:DWORD dst_unused:UNUSED_PAD src0_sel:DWORD src1_sel:BYTE_3
	v_and_b32_e32 v37, 0xff, v2
	v_and_b32_e32 v36, 0xff, v35
	v_and_b32_sdwa v7, v2, s64 dst_sel:DWORD dst_unused:UNUSED_PAD src0_sel:WORD_1 src1_sel:DWORD
	v_and_b32_sdwa v0, s33, v2 dst_sel:DWORD dst_unused:UNUSED_PAD src0_sel:DWORD src1_sel:BYTE_3
	v_and_b32_e32 v35, 0xff, v3
	v_and_b32_sdwa v2, v3, s64 dst_sel:DWORD dst_unused:UNUSED_PAD src0_sel:WORD_1 src1_sel:DWORD
	v_and_b32_sdwa v1, s33, v3 dst_sel:DWORD dst_unused:UNUSED_PAD src0_sel:DWORD src1_sel:BYTE_3
	s_waitcnt lgkmcnt(0)
	v_cndmask_b32_e64 v3, v20, v21, s[62:63]
	ds_bpermute_b32 v20, v10, v17
	ds_bpermute_b32 v21, v10, v13
	;; [unrolled: 1-line block ×5, first 2 shown]
	s_waitcnt lgkmcnt(4)
	v_cndmask_b32_e64 v3, v3, v20, s[52:53]
	ds_bpermute_b32 v20, v10, v11
	s_waitcnt lgkmcnt(4)
	v_cndmask_b32_e64 v3, v3, v21, s[54:55]
	ds_bpermute_b32 v21, v10, v12
	;; [unrolled: 3-line block ×3, first 2 shown]
	v_and_b32_sdwa v51, s33, v6 dst_sel:DWORD dst_unused:UNUSED_PAD src0_sel:DWORD src1_sel:BYTE_3
	s_waitcnt lgkmcnt(4)
	v_cndmask_b32_e64 v3, v3, v23, s[58:59]
	ds_bpermute_b32 v23, v10, v4
	s_waitcnt lgkmcnt(4)
	v_cndmask_b32_e64 v3, v3, v24, s[60:61]
	ds_bpermute_b32 v24, v10, v51
	;; [unrolled: 3-line block ×18, first 2 shown]
	v_and_b32_e32 v6, 0xff, v34
	s_waitcnt lgkmcnt(4)
	v_cndmask_b32_e64 v3, v3, v21, s[10:11]
	ds_bpermute_b32 v21, v10, v35
	s_waitcnt lgkmcnt(4)
	v_cndmask_b32_e64 v3, v3, v22, s[12:13]
	ds_bpermute_b32 v22, v10, v6
	;; [unrolled: 3-line block ×4, first 2 shown]
	s_waitcnt lgkmcnt(4)
	v_cndmask_b32_e64 v3, v3, v20, s[0:1]
	s_waitcnt lgkmcnt(3)
	v_cndmask_b32_e64 v3, v3, v21, s[2:3]
	;; [unrolled: 2-line block ×5, first 2 shown]
	ds_bpermute_b32 v3, v10, v18 offset:4
	ds_bpermute_b32 v21, v10, v19 offset:4
	;; [unrolled: 1-line block ×6, first 2 shown]
	s_waitcnt lgkmcnt(4)
	v_cndmask_b32_e64 v3, v3, v21, s[62:63]
	ds_bpermute_b32 v21, v10, v14 offset:4
	s_waitcnt lgkmcnt(4)
	v_cndmask_b32_e64 v3, v3, v22, s[52:53]
	ds_bpermute_b32 v22, v10, v11 offset:4
	;; [unrolled: 3-line block ×23, first 2 shown]
	s_waitcnt lgkmcnt(4)
	v_cndmask_b32_e64 v3, v3, v24, s[12:13]
	s_waitcnt lgkmcnt(3)
	v_cndmask_b32_e64 v3, v3, v25, s[14:15]
	ds_bpermute_b32 v24, v10, v6 offset:4
	ds_bpermute_b32 v25, v10, v2 offset:4
	s_waitcnt lgkmcnt(4)
	v_cndmask_b32_e64 v3, v3, v21, s[16:17]
	s_waitcnt lgkmcnt(3)
	v_cndmask_b32_e64 v3, v3, v22, s[0:1]
	;; [unrolled: 2-line block ×3, first 2 shown]
	ds_bpermute_b32 v21, v10, v1 offset:4
	ds_bpermute_b32 v22, v10, v18 offset:8
	;; [unrolled: 1-line block ×3, first 2 shown]
	s_waitcnt lgkmcnt(4)
	v_cndmask_b32_e64 v3, v3, v24, s[4:5]
	ds_bpermute_b32 v24, v10, v17 offset:8
	s_waitcnt lgkmcnt(4)
	v_cndmask_b32_e64 v3, v3, v25, s[6:7]
	ds_bpermute_b32 v25, v10, v13 offset:8
	ds_bpermute_b32 v26, v10, v16 offset:8
	s_waitcnt lgkmcnt(5)
	v_cndmask_b32_e64 v21, v3, v21, s[28:29]
	s_waitcnt lgkmcnt(3)
	v_cndmask_b32_e64 v3, v22, v23, s[62:63]
	ds_bpermute_b32 v22, v10, v15 offset:8
	ds_bpermute_b32 v23, v10, v14 offset:8
	s_waitcnt lgkmcnt(4)
	v_cndmask_b32_e64 v3, v3, v24, s[52:53]
	ds_bpermute_b32 v24, v10, v11 offset:8
	s_waitcnt lgkmcnt(4)
	v_cndmask_b32_e64 v3, v3, v25, s[54:55]
	;; [unrolled: 3-line block ×24, first 2 shown]
	s_waitcnt lgkmcnt(3)
	v_cndmask_b32_e64 v3, v3, v23, s[16:17]
	ds_bpermute_b32 v22, v10, v2 offset:8
	s_waitcnt lgkmcnt(3)
	v_cndmask_b32_e64 v3, v3, v24, s[0:1]
	ds_bpermute_b32 v23, v10, v1 offset:8
	s_waitcnt lgkmcnt(3)
	v_cndmask_b32_e64 v3, v3, v25, s[2:3]
	ds_bpermute_b32 v24, v10, v18 offset:12
	ds_bpermute_b32 v25, v10, v19 offset:12
	s_waitcnt lgkmcnt(4)
	v_cndmask_b32_e64 v3, v3, v26, s[4:5]
	ds_bpermute_b32 v26, v10, v17 offset:12
	ds_bpermute_b32 v27, v10, v13 offset:12
	s_waitcnt lgkmcnt(5)
	v_cndmask_b32_e64 v3, v3, v22, s[6:7]
	s_waitcnt lgkmcnt(4)
	v_cndmask_b32_e64 v22, v3, v23, s[28:29]
	ds_bpermute_b32 v23, v10, v16 offset:12
	s_waitcnt lgkmcnt(3)
	v_cndmask_b32_e64 v3, v24, v25, s[62:63]
	ds_bpermute_b32 v24, v10, v15 offset:12
	ds_bpermute_b32 v25, v10, v14 offset:12
	s_waitcnt lgkmcnt(4)
	v_cndmask_b32_e64 v3, v3, v26, s[52:53]
	ds_bpermute_b32 v26, v10, v11 offset:12
	s_waitcnt lgkmcnt(4)
	v_cndmask_b32_e64 v3, v3, v27, s[54:55]
	;; [unrolled: 3-line block ×23, first 2 shown]
	s_waitcnt lgkmcnt(3)
	v_cndmask_b32_e64 v3, v3, v24, s[14:15]
	ds_bpermute_b32 v23, v10, v6 offset:12
	s_waitcnt lgkmcnt(3)
	v_cndmask_b32_e64 v3, v3, v25, s[16:17]
	ds_bpermute_b32 v24, v10, v2 offset:12
	;; [unrolled: 3-line block ×4, first 2 shown]
	ds_bpermute_b32 v27, v10, v19 offset:16
	ds_bpermute_b32 v28, v10, v17 offset:16
	s_waitcnt lgkmcnt(5)
	v_cndmask_b32_e64 v3, v3, v23, s[4:5]
	s_waitcnt lgkmcnt(4)
	v_cndmask_b32_e64 v3, v3, v24, s[6:7]
	ds_bpermute_b32 v24, v10, v13 offset:16
	s_waitcnt lgkmcnt(4)
	v_cndmask_b32_e64 v23, v3, v25, s[28:29]
	ds_bpermute_b32 v25, v10, v16 offset:16
	s_waitcnt lgkmcnt(3)
	v_cndmask_b32_e64 v3, v26, v27, s[62:63]
	ds_bpermute_b32 v26, v10, v15 offset:16
	ds_bpermute_b32 v27, v10, v14 offset:16
	s_waitcnt lgkmcnt(4)
	v_cndmask_b32_e64 v3, v3, v28, s[52:53]
	ds_bpermute_b32 v28, v10, v11 offset:16
	s_waitcnt lgkmcnt(4)
	v_cndmask_b32_e64 v3, v3, v24, s[54:55]
	;; [unrolled: 3-line block ×26, first 2 shown]
	ds_bpermute_b32 v28, v10, v18 offset:20
	ds_bpermute_b32 v29, v10, v19 offset:20
	s_waitcnt lgkmcnt(5)
	v_cndmask_b32_e64 v3, v3, v24, s[2:3]
	s_waitcnt lgkmcnt(4)
	v_cndmask_b32_e64 v3, v3, v25, s[4:5]
	ds_bpermute_b32 v25, v10, v17 offset:20
	s_waitcnt lgkmcnt(4)
	v_cndmask_b32_e64 v3, v3, v26, s[6:7]
	ds_bpermute_b32 v26, v10, v13 offset:20
	;; [unrolled: 3-line block ×4, first 2 shown]
	ds_bpermute_b32 v29, v10, v14 offset:20
	s_waitcnt lgkmcnt(4)
	v_cndmask_b32_e64 v3, v3, v25, s[52:53]
	ds_bpermute_b32 v25, v10, v11 offset:20
	s_waitcnt lgkmcnt(4)
	v_cndmask_b32_e64 v3, v3, v26, s[54:55]
	;; [unrolled: 3-line block ×26, first 2 shown]
	s_waitcnt lgkmcnt(3)
	v_cndmask_b32_e64 v3, v3, v26, s[2:3]
	s_waitcnt lgkmcnt(2)
	v_cndmask_b32_e64 v3, v3, v27, s[4:5]
	;; [unrolled: 2-line block ×4, first 2 shown]
	ds_bpermute_b32 v3, v10, v18 offset:24
	ds_bpermute_b32 v26, v10, v19 offset:24
	;; [unrolled: 1-line block ×6, first 2 shown]
	s_waitcnt lgkmcnt(4)
	v_cndmask_b32_e64 v3, v3, v26, s[62:63]
	ds_bpermute_b32 v26, v10, v14 offset:24
	s_waitcnt lgkmcnt(4)
	v_cndmask_b32_e64 v3, v3, v27, s[52:53]
	ds_bpermute_b32 v27, v10, v11 offset:24
	s_waitcnt lgkmcnt(4)
	v_cndmask_b32_e64 v3, v3, v28, s[54:55]
	ds_bpermute_b32 v28, v10, v12 offset:24
	s_waitcnt lgkmcnt(4)
	v_cndmask_b32_e64 v3, v3, v29, s[56:57]
	ds_bpermute_b32 v29, v10, v5 offset:24
	s_waitcnt lgkmcnt(4)
	v_cndmask_b32_e64 v3, v3, v30, s[58:59]
	ds_bpermute_b32 v30, v10, v4 offset:24
	s_waitcnt lgkmcnt(4)
	v_cndmask_b32_e64 v3, v3, v26, s[60:61]
	ds_bpermute_b32 v26, v10, v51 offset:24
	s_waitcnt lgkmcnt(4)
	v_cndmask_b32_e64 v3, v3, v27, s[42:43]
	ds_bpermute_b32 v27, v10, v50 offset:24
	s_waitcnt lgkmcnt(4)
	v_cndmask_b32_e64 v3, v3, v28, s[44:45]
	ds_bpermute_b32 v28, v10, v49 offset:24
	s_waitcnt lgkmcnt(4)
	v_cndmask_b32_e64 v3, v3, v29, s[46:47]
	ds_bpermute_b32 v29, v10, v48 offset:24
	s_waitcnt lgkmcnt(4)
	v_cndmask_b32_e64 v3, v3, v30, s[48:49]
	ds_bpermute_b32 v30, v10, v47 offset:24
	s_waitcnt lgkmcnt(4)
	v_cndmask_b32_e64 v3, v3, v26, s[50:51]
	ds_bpermute_b32 v26, v10, v46 offset:24
	s_waitcnt lgkmcnt(4)
	v_cndmask_b32_e64 v3, v3, v27, s[30:31]
	ds_bpermute_b32 v27, v10, v45 offset:24
	s_waitcnt lgkmcnt(4)
	v_cndmask_b32_e64 v3, v3, v28, s[34:35]
	ds_bpermute_b32 v28, v10, v44 offset:24
	s_waitcnt lgkmcnt(4)
	v_cndmask_b32_e64 v3, v3, v29, s[36:37]
	ds_bpermute_b32 v29, v10, v43 offset:24
	s_waitcnt lgkmcnt(4)
	v_cndmask_b32_e64 v3, v3, v30, s[38:39]
	ds_bpermute_b32 v30, v10, v42 offset:24
	s_waitcnt lgkmcnt(4)
	v_cndmask_b32_e64 v3, v3, v26, s[40:41]
	ds_bpermute_b32 v26, v10, v41 offset:24
	s_waitcnt lgkmcnt(4)
	v_cndmask_b32_e64 v3, v3, v27, s[18:19]
	ds_bpermute_b32 v27, v10, v40 offset:24
	s_waitcnt lgkmcnt(4)
	v_cndmask_b32_e64 v3, v3, v28, s[20:21]
	ds_bpermute_b32 v28, v10, v38 offset:24
	s_waitcnt lgkmcnt(4)
	v_cndmask_b32_e64 v3, v3, v29, s[22:23]
	ds_bpermute_b32 v29, v10, v37 offset:24
	s_waitcnt lgkmcnt(4)
	v_cndmask_b32_e64 v3, v3, v30, s[24:25]
	ds_bpermute_b32 v30, v10, v36 offset:24
	s_waitcnt lgkmcnt(4)
	v_cndmask_b32_e64 v3, v3, v26, s[26:27]
	ds_bpermute_b32 v26, v10, v7 offset:24
	s_waitcnt lgkmcnt(4)
	v_cndmask_b32_e64 v3, v3, v27, s[8:9]
	ds_bpermute_b32 v27, v10, v0 offset:24
	s_waitcnt lgkmcnt(4)
	v_cndmask_b32_e64 v3, v3, v28, s[10:11]
	ds_bpermute_b32 v28, v10, v35 offset:24
	s_waitcnt lgkmcnt(4)
	v_cndmask_b32_e64 v3, v3, v29, s[12:13]
	s_waitcnt lgkmcnt(3)
	v_cndmask_b32_e64 v3, v3, v30, s[14:15]
	ds_bpermute_b32 v29, v10, v6 offset:24
	ds_bpermute_b32 v30, v10, v2 offset:24
	s_waitcnt lgkmcnt(4)
	v_cndmask_b32_e64 v3, v3, v26, s[16:17]
	s_waitcnt lgkmcnt(3)
	v_cndmask_b32_e64 v3, v3, v27, s[0:1]
	;; [unrolled: 2-line block ×3, first 2 shown]
	ds_bpermute_b32 v26, v10, v1 offset:24
	ds_bpermute_b32 v27, v10, v18 offset:28
	;; [unrolled: 1-line block ×3, first 2 shown]
	s_waitcnt lgkmcnt(4)
	v_cndmask_b32_e64 v3, v3, v29, s[4:5]
	ds_bpermute_b32 v29, v10, v17 offset:28
	s_waitcnt lgkmcnt(4)
	v_cndmask_b32_e64 v3, v3, v30, s[6:7]
	ds_bpermute_b32 v30, v10, v13 offset:28
	ds_bpermute_b32 v31, v10, v16 offset:28
	s_waitcnt lgkmcnt(5)
	v_cndmask_b32_e64 v26, v3, v26, s[28:29]
	s_waitcnt lgkmcnt(3)
	v_cndmask_b32_e64 v3, v27, v28, s[62:63]
	ds_bpermute_b32 v27, v10, v15 offset:28
	ds_bpermute_b32 v28, v10, v14 offset:28
	s_waitcnt lgkmcnt(4)
	v_cndmask_b32_e64 v3, v3, v29, s[52:53]
	ds_bpermute_b32 v29, v10, v11 offset:28
	s_waitcnt lgkmcnt(4)
	v_cndmask_b32_e64 v3, v3, v30, s[54:55]
	;; [unrolled: 3-line block ×24, first 2 shown]
	s_waitcnt lgkmcnt(3)
	v_cndmask_b32_e64 v3, v3, v28, s[16:17]
	ds_bpermute_b32 v27, v10, v2 offset:28
	s_waitcnt lgkmcnt(3)
	v_cndmask_b32_e64 v3, v3, v29, s[0:1]
	ds_bpermute_b32 v28, v10, v1 offset:28
	;; [unrolled: 3-line block ×3, first 2 shown]
	ds_bpermute_b32 v30, v10, v19 offset:32
	s_waitcnt lgkmcnt(4)
	v_cndmask_b32_e64 v3, v3, v31, s[4:5]
	ds_bpermute_b32 v31, v10, v17 offset:32
	ds_bpermute_b32 v32, v10, v13 offset:32
	s_waitcnt lgkmcnt(5)
	v_cndmask_b32_e64 v3, v3, v27, s[6:7]
	s_waitcnt lgkmcnt(4)
	v_cndmask_b32_e64 v27, v3, v28, s[28:29]
	ds_bpermute_b32 v28, v10, v16 offset:32
	s_waitcnt lgkmcnt(3)
	v_cndmask_b32_e64 v3, v29, v30, s[62:63]
	ds_bpermute_b32 v29, v10, v15 offset:32
	ds_bpermute_b32 v30, v10, v14 offset:32
	s_waitcnt lgkmcnt(4)
	v_cndmask_b32_e64 v3, v3, v31, s[52:53]
	ds_bpermute_b32 v31, v10, v11 offset:32
	s_waitcnt lgkmcnt(4)
	v_cndmask_b32_e64 v3, v3, v32, s[54:55]
	;; [unrolled: 3-line block ×23, first 2 shown]
	s_waitcnt lgkmcnt(3)
	v_cndmask_b32_e64 v3, v3, v29, s[14:15]
	ds_bpermute_b32 v28, v10, v6 offset:32
	s_waitcnt lgkmcnt(3)
	v_cndmask_b32_e64 v3, v3, v30, s[16:17]
	ds_bpermute_b32 v29, v10, v2 offset:32
	s_waitcnt lgkmcnt(3)
	v_cndmask_b32_e64 v3, v3, v31, s[0:1]
	ds_bpermute_b32 v30, v10, v1 offset:32
	s_waitcnt lgkmcnt(3)
	v_cndmask_b32_e64 v3, v3, v32, s[2:3]
	ds_bpermute_b32 v31, v10, v18 offset:36
	ds_bpermute_b32 v32, v10, v19 offset:36
	ds_bpermute_b32 v33, v10, v17 offset:36
	s_waitcnt lgkmcnt(5)
	v_cndmask_b32_e64 v3, v3, v28, s[4:5]
	s_waitcnt lgkmcnt(4)
	v_cndmask_b32_e64 v3, v3, v29, s[6:7]
	ds_bpermute_b32 v29, v10, v13 offset:36
	s_waitcnt lgkmcnt(4)
	v_cndmask_b32_e64 v28, v3, v30, s[28:29]
	ds_bpermute_b32 v30, v10, v16 offset:36
	;; [unrolled: 3-line block ×3, first 2 shown]
	ds_bpermute_b32 v32, v10, v14 offset:36
	s_waitcnt lgkmcnt(4)
	v_cndmask_b32_e64 v3, v3, v33, s[52:53]
	ds_bpermute_b32 v33, v10, v11 offset:36
	s_waitcnt lgkmcnt(4)
	v_cndmask_b32_e64 v3, v3, v29, s[54:55]
	;; [unrolled: 3-line block ×26, first 2 shown]
	ds_bpermute_b32 v33, v10, v18 offset:40
	ds_bpermute_b32 v34, v10, v19 offset:40
	s_waitcnt lgkmcnt(5)
	v_cndmask_b32_e64 v3, v3, v29, s[2:3]
	s_waitcnt lgkmcnt(4)
	v_cndmask_b32_e64 v3, v3, v30, s[4:5]
	ds_bpermute_b32 v30, v10, v17 offset:40
	s_waitcnt lgkmcnt(4)
	v_cndmask_b32_e64 v3, v3, v31, s[6:7]
	ds_bpermute_b32 v31, v10, v13 offset:40
	;; [unrolled: 3-line block ×4, first 2 shown]
	ds_bpermute_b32 v34, v10, v14 offset:40
	s_waitcnt lgkmcnt(4)
	v_cndmask_b32_e64 v3, v3, v30, s[52:53]
	ds_bpermute_b32 v30, v10, v11 offset:40
	s_waitcnt lgkmcnt(4)
	v_cndmask_b32_e64 v3, v3, v31, s[54:55]
	;; [unrolled: 3-line block ×26, first 2 shown]
	s_waitcnt lgkmcnt(3)
	v_cndmask_b32_e64 v3, v3, v31, s[2:3]
	s_waitcnt lgkmcnt(2)
	v_cndmask_b32_e64 v3, v3, v32, s[4:5]
	;; [unrolled: 2-line block ×4, first 2 shown]
	ds_bpermute_b32 v3, v10, v18 offset:44
	ds_bpermute_b32 v31, v10, v19 offset:44
	ds_bpermute_b32 v32, v10, v17 offset:44
	ds_bpermute_b32 v33, v10, v13 offset:44
	ds_bpermute_b32 v34, v10, v16 offset:44
	ds_bpermute_b32 v39, v10, v15 offset:44
	s_waitcnt lgkmcnt(4)
	v_cndmask_b32_e64 v3, v3, v31, s[62:63]
	ds_bpermute_b32 v31, v10, v14 offset:44
	s_waitcnt lgkmcnt(4)
	v_cndmask_b32_e64 v3, v3, v32, s[52:53]
	ds_bpermute_b32 v32, v10, v11 offset:44
	;; [unrolled: 3-line block ×23, first 2 shown]
	s_waitcnt lgkmcnt(4)
	v_cndmask_b32_e64 v3, v3, v34, s[12:13]
	s_waitcnt lgkmcnt(3)
	v_cndmask_b32_e64 v3, v3, v39, s[14:15]
	ds_bpermute_b32 v34, v10, v6 offset:44
	ds_bpermute_b32 v39, v10, v2 offset:44
	s_waitcnt lgkmcnt(4)
	v_cndmask_b32_e64 v3, v3, v31, s[16:17]
	s_waitcnt lgkmcnt(3)
	v_cndmask_b32_e64 v3, v3, v32, s[0:1]
	;; [unrolled: 2-line block ×3, first 2 shown]
	ds_bpermute_b32 v31, v10, v1 offset:44
	ds_bpermute_b32 v32, v10, v18 offset:48
	;; [unrolled: 1-line block ×3, first 2 shown]
	s_waitcnt lgkmcnt(4)
	v_cndmask_b32_e64 v3, v3, v34, s[4:5]
	ds_bpermute_b32 v34, v10, v17 offset:48
	s_waitcnt lgkmcnt(4)
	v_cndmask_b32_e64 v3, v3, v39, s[6:7]
	ds_bpermute_b32 v39, v10, v13 offset:48
	ds_bpermute_b32 v52, v10, v16 offset:48
	s_waitcnt lgkmcnt(5)
	v_cndmask_b32_e64 v31, v3, v31, s[28:29]
	s_waitcnt lgkmcnt(3)
	v_cndmask_b32_e64 v3, v32, v33, s[62:63]
	ds_bpermute_b32 v32, v10, v15 offset:48
	ds_bpermute_b32 v33, v10, v14 offset:48
	s_waitcnt lgkmcnt(4)
	v_cndmask_b32_e64 v3, v3, v34, s[52:53]
	ds_bpermute_b32 v34, v10, v11 offset:48
	s_waitcnt lgkmcnt(4)
	v_cndmask_b32_e64 v3, v3, v39, s[54:55]
	;; [unrolled: 3-line block ×24, first 2 shown]
	s_waitcnt lgkmcnt(3)
	v_cndmask_b32_e64 v3, v3, v33, s[16:17]
	ds_bpermute_b32 v32, v10, v2 offset:48
	s_waitcnt lgkmcnt(3)
	v_cndmask_b32_e64 v3, v3, v34, s[0:1]
	ds_bpermute_b32 v33, v10, v1 offset:48
	;; [unrolled: 3-line block ×3, first 2 shown]
	ds_bpermute_b32 v39, v10, v19 offset:52
	s_waitcnt lgkmcnt(4)
	v_cndmask_b32_e64 v3, v3, v52, s[4:5]
	ds_bpermute_b32 v52, v10, v17 offset:52
	ds_bpermute_b32 v53, v10, v13 offset:52
	s_waitcnt lgkmcnt(5)
	v_cndmask_b32_e64 v3, v3, v32, s[6:7]
	s_waitcnt lgkmcnt(4)
	v_cndmask_b32_e64 v32, v3, v33, s[28:29]
	ds_bpermute_b32 v33, v10, v16 offset:52
	s_waitcnt lgkmcnt(3)
	v_cndmask_b32_e64 v3, v34, v39, s[62:63]
	ds_bpermute_b32 v34, v10, v15 offset:52
	ds_bpermute_b32 v39, v10, v14 offset:52
	s_waitcnt lgkmcnt(4)
	v_cndmask_b32_e64 v3, v3, v52, s[52:53]
	ds_bpermute_b32 v52, v10, v11 offset:52
	s_waitcnt lgkmcnt(4)
	v_cndmask_b32_e64 v3, v3, v53, s[54:55]
	;; [unrolled: 3-line block ×23, first 2 shown]
	s_waitcnt lgkmcnt(3)
	v_cndmask_b32_e64 v3, v3, v34, s[14:15]
	ds_bpermute_b32 v33, v10, v6 offset:52
	s_waitcnt lgkmcnt(3)
	v_cndmask_b32_e64 v3, v3, v39, s[16:17]
	ds_bpermute_b32 v34, v10, v2 offset:52
	;; [unrolled: 3-line block ×4, first 2 shown]
	ds_bpermute_b32 v53, v10, v19 offset:56
	ds_bpermute_b32 v54, v10, v17 offset:56
	s_waitcnt lgkmcnt(5)
	v_cndmask_b32_e64 v3, v3, v33, s[4:5]
	s_waitcnt lgkmcnt(4)
	v_cndmask_b32_e64 v3, v3, v34, s[6:7]
	ds_bpermute_b32 v34, v10, v13 offset:56
	s_waitcnt lgkmcnt(4)
	v_cndmask_b32_e64 v33, v3, v39, s[28:29]
	ds_bpermute_b32 v39, v10, v16 offset:56
	;; [unrolled: 3-line block ×3, first 2 shown]
	ds_bpermute_b32 v53, v10, v14 offset:56
	s_waitcnt lgkmcnt(4)
	v_cndmask_b32_e64 v3, v3, v54, s[52:53]
	ds_bpermute_b32 v54, v10, v11 offset:56
	s_waitcnt lgkmcnt(4)
	v_cndmask_b32_e64 v3, v3, v34, s[54:55]
	;; [unrolled: 3-line block ×26, first 2 shown]
	ds_bpermute_b32 v54, v10, v18 offset:60
	ds_bpermute_b32 v55, v10, v19 offset:60
	s_waitcnt lgkmcnt(5)
	v_cndmask_b32_e64 v3, v3, v34, s[2:3]
	s_waitcnt lgkmcnt(4)
	v_cndmask_b32_e64 v3, v3, v39, s[4:5]
	ds_bpermute_b32 v34, v10, v17 offset:60
	s_waitcnt lgkmcnt(4)
	v_cndmask_b32_e64 v3, v3, v52, s[6:7]
	ds_bpermute_b32 v52, v10, v13 offset:60
	;; [unrolled: 3-line block ×4, first 2 shown]
	ds_bpermute_b32 v55, v10, v14 offset:60
	s_waitcnt lgkmcnt(4)
	v_cndmask_b32_e64 v3, v3, v34, s[52:53]
	ds_bpermute_b32 v34, v10, v11 offset:60
	s_waitcnt lgkmcnt(4)
	v_cndmask_b32_e64 v3, v3, v52, s[54:55]
	;; [unrolled: 3-line block ×26, first 2 shown]
	s_waitcnt lgkmcnt(3)
	v_cndmask_b32_e64 v3, v3, v52, s[2:3]
	s_waitcnt lgkmcnt(2)
	v_cndmask_b32_e64 v3, v3, v53, s[4:5]
	;; [unrolled: 2-line block ×4, first 2 shown]
	ds_bpermute_b32 v3, v10, v18 offset:64
	ds_bpermute_b32 v34, v10, v19 offset:64
	;; [unrolled: 1-line block ×6, first 2 shown]
	s_waitcnt lgkmcnt(4)
	v_cndmask_b32_e64 v3, v3, v34, s[62:63]
	ds_bpermute_b32 v34, v10, v14 offset:64
	s_waitcnt lgkmcnt(4)
	v_cndmask_b32_e64 v3, v3, v52, s[52:53]
	ds_bpermute_b32 v52, v10, v11 offset:64
	;; [unrolled: 3-line block ×25, first 2 shown]
	s_waitcnt lgkmcnt(4)
	v_cndmask_b32_e64 v3, v3, v34, s[16:17]
	s_waitcnt lgkmcnt(3)
	v_cndmask_b32_e64 v3, v3, v52, s[0:1]
	ds_bpermute_b32 v34, v10, v1 offset:64
	s_waitcnt lgkmcnt(3)
	v_cndmask_b32_e64 v3, v3, v53, s[2:3]
	ds_bpermute_b32 v52, v10, v18 offset:68
	ds_bpermute_b32 v53, v10, v19 offset:68
	s_waitcnt lgkmcnt(4)
	v_cndmask_b32_e64 v3, v3, v55, s[4:5]
	ds_bpermute_b32 v55, v10, v17 offset:68
	s_waitcnt lgkmcnt(4)
	v_cndmask_b32_e64 v3, v3, v56, s[6:7]
	ds_bpermute_b32 v56, v10, v13 offset:68
	ds_bpermute_b32 v57, v10, v16 offset:68
	s_waitcnt lgkmcnt(5)
	v_cndmask_b32_e64 v62, v3, v34, s[28:29]
	ds_bpermute_b32 v34, v10, v15 offset:68
	s_waitcnt lgkmcnt(4)
	v_cndmask_b32_e64 v3, v52, v53, s[62:63]
	;; [unrolled: 3-line block ×26, first 2 shown]
	s_waitcnt lgkmcnt(3)
	v_cndmask_b32_e64 v3, v3, v52, s[16:17]
	ds_bpermute_b32 v34, v10, v2 offset:68
	s_waitcnt lgkmcnt(3)
	v_cndmask_b32_e64 v3, v3, v53, s[0:1]
	ds_bpermute_b32 v52, v10, v1 offset:68
	;; [unrolled: 3-line block ×3, first 2 shown]
	ds_bpermute_b32 v55, v10, v19 offset:72
	s_waitcnt lgkmcnt(4)
	v_cndmask_b32_e64 v3, v3, v56, s[4:5]
	ds_bpermute_b32 v56, v10, v17 offset:72
	ds_bpermute_b32 v57, v10, v13 offset:72
	s_waitcnt lgkmcnt(5)
	v_cndmask_b32_e64 v3, v3, v34, s[6:7]
	ds_bpermute_b32 v34, v10, v16 offset:72
	s_waitcnt lgkmcnt(5)
	v_cndmask_b32_e64 v63, v3, v52, s[28:29]
	;; [unrolled: 3-line block ×26, first 2 shown]
	s_waitcnt lgkmcnt(3)
	v_cndmask_b32_e64 v3, v3, v52, s[14:15]
	ds_bpermute_b32 v34, v10, v6 offset:72
	s_waitcnt lgkmcnt(3)
	v_cndmask_b32_e64 v3, v3, v53, s[16:17]
	ds_bpermute_b32 v52, v10, v2 offset:72
	;; [unrolled: 3-line block ×4, first 2 shown]
	ds_bpermute_b32 v56, v10, v19 offset:76
	ds_bpermute_b32 v57, v10, v17 offset:76
	s_waitcnt lgkmcnt(5)
	v_cndmask_b32_e64 v3, v3, v34, s[4:5]
	ds_bpermute_b32 v34, v10, v13 offset:76
	s_waitcnt lgkmcnt(5)
	v_cndmask_b32_e64 v3, v3, v52, s[6:7]
	;; [unrolled: 3-line block ×30, first 2 shown]
	ds_bpermute_b32 v56, v10, v18 offset:80
	ds_bpermute_b32 v57, v10, v19 offset:80
	s_waitcnt lgkmcnt(5)
	v_cndmask_b32_e64 v3, v3, v34, s[2:3]
	ds_bpermute_b32 v34, v10, v17 offset:80
	s_waitcnt lgkmcnt(5)
	v_cndmask_b32_e64 v3, v3, v52, s[4:5]
	ds_bpermute_b32 v52, v10, v13 offset:80
	s_waitcnt lgkmcnt(5)
	v_cndmask_b32_e64 v3, v3, v53, s[6:7]
	ds_bpermute_b32 v53, v10, v16 offset:80
	s_waitcnt lgkmcnt(5)
	v_cndmask_b32_e64 v65, v3, v55, s[28:29]
	ds_bpermute_b32 v55, v10, v15 offset:80
	s_waitcnt lgkmcnt(4)
	v_cndmask_b32_e64 v3, v56, v57, s[62:63]
	ds_bpermute_b32 v56, v10, v14 offset:80
	s_waitcnt lgkmcnt(4)
	v_cndmask_b32_e64 v3, v3, v34, s[52:53]
	ds_bpermute_b32 v34, v10, v11 offset:80
	s_waitcnt lgkmcnt(4)
	v_cndmask_b32_e64 v3, v3, v52, s[54:55]
	ds_bpermute_b32 v52, v10, v12 offset:80
	s_waitcnt lgkmcnt(4)
	v_cndmask_b32_e64 v3, v3, v53, s[56:57]
	ds_bpermute_b32 v53, v10, v5 offset:80
	s_waitcnt lgkmcnt(4)
	v_cndmask_b32_e64 v3, v3, v55, s[58:59]
	ds_bpermute_b32 v55, v10, v4 offset:80
	s_waitcnt lgkmcnt(4)
	v_cndmask_b32_e64 v3, v3, v56, s[60:61]
	ds_bpermute_b32 v56, v10, v51 offset:80
	s_waitcnt lgkmcnt(4)
	v_cndmask_b32_e64 v3, v3, v34, s[42:43]
	ds_bpermute_b32 v34, v10, v50 offset:80
	s_waitcnt lgkmcnt(4)
	v_cndmask_b32_e64 v3, v3, v52, s[44:45]
	ds_bpermute_b32 v52, v10, v49 offset:80
	s_waitcnt lgkmcnt(4)
	v_cndmask_b32_e64 v3, v3, v53, s[46:47]
	ds_bpermute_b32 v53, v10, v48 offset:80
	s_waitcnt lgkmcnt(4)
	v_cndmask_b32_e64 v3, v3, v55, s[48:49]
	ds_bpermute_b32 v55, v10, v47 offset:80
	s_waitcnt lgkmcnt(4)
	v_cndmask_b32_e64 v3, v3, v56, s[50:51]
	ds_bpermute_b32 v56, v10, v46 offset:80
	s_waitcnt lgkmcnt(4)
	v_cndmask_b32_e64 v3, v3, v34, s[30:31]
	ds_bpermute_b32 v34, v10, v45 offset:80
	s_waitcnt lgkmcnt(4)
	v_cndmask_b32_e64 v3, v3, v52, s[34:35]
	ds_bpermute_b32 v52, v10, v44 offset:80
	s_waitcnt lgkmcnt(4)
	v_cndmask_b32_e64 v3, v3, v53, s[36:37]
	ds_bpermute_b32 v53, v10, v43 offset:80
	s_waitcnt lgkmcnt(4)
	v_cndmask_b32_e64 v3, v3, v55, s[38:39]
	ds_bpermute_b32 v55, v10, v42 offset:80
	s_waitcnt lgkmcnt(4)
	v_cndmask_b32_e64 v3, v3, v56, s[40:41]
	ds_bpermute_b32 v56, v10, v41 offset:80
	s_waitcnt lgkmcnt(4)
	v_cndmask_b32_e64 v3, v3, v34, s[18:19]
	ds_bpermute_b32 v34, v10, v40 offset:80
	s_waitcnt lgkmcnt(4)
	v_cndmask_b32_e64 v3, v3, v52, s[20:21]
	ds_bpermute_b32 v52, v10, v38 offset:80
	s_waitcnt lgkmcnt(4)
	v_cndmask_b32_e64 v3, v3, v53, s[22:23]
	ds_bpermute_b32 v53, v10, v37 offset:80
	s_waitcnt lgkmcnt(4)
	v_cndmask_b32_e64 v3, v3, v55, s[24:25]
	ds_bpermute_b32 v55, v10, v36 offset:80
	s_waitcnt lgkmcnt(4)
	v_cndmask_b32_e64 v3, v3, v56, s[26:27]
	ds_bpermute_b32 v56, v10, v7 offset:80
	s_waitcnt lgkmcnt(4)
	v_cndmask_b32_e64 v3, v3, v34, s[8:9]
	ds_bpermute_b32 v34, v10, v0 offset:80
	s_waitcnt lgkmcnt(4)
	v_cndmask_b32_e64 v3, v3, v52, s[10:11]
	ds_bpermute_b32 v52, v10, v35 offset:80
	s_waitcnt lgkmcnt(4)
	v_cndmask_b32_e64 v3, v3, v53, s[12:13]
	ds_bpermute_b32 v53, v10, v6 offset:80
	s_waitcnt lgkmcnt(4)
	v_cndmask_b32_e64 v3, v3, v55, s[14:15]
	ds_bpermute_b32 v55, v10, v2 offset:80
	s_waitcnt lgkmcnt(4)
	v_cndmask_b32_e64 v3, v3, v56, s[16:17]
	ds_bpermute_b32 v56, v10, v1 offset:80
	s_waitcnt lgkmcnt(4)
	v_cndmask_b32_e64 v3, v3, v34, s[0:1]
	s_waitcnt lgkmcnt(3)
	v_cndmask_b32_e64 v3, v3, v52, s[2:3]
	s_waitcnt lgkmcnt(2)
	v_cndmask_b32_e64 v3, v3, v53, s[4:5]
	;; [unrolled: 2-line block ×4, first 2 shown]
	ds_bpermute_b32 v3, v10, v18 offset:84
	ds_bpermute_b32 v34, v10, v19 offset:84
	;; [unrolled: 1-line block ×6, first 2 shown]
	s_waitcnt lgkmcnt(4)
	v_cndmask_b32_e64 v3, v3, v34, s[62:63]
	ds_bpermute_b32 v34, v10, v14 offset:84
	s_waitcnt lgkmcnt(4)
	v_cndmask_b32_e64 v3, v3, v52, s[52:53]
	ds_bpermute_b32 v52, v10, v11 offset:84
	;; [unrolled: 3-line block ×23, first 2 shown]
	s_waitcnt lgkmcnt(4)
	v_cndmask_b32_e64 v3, v3, v55, s[12:13]
	s_waitcnt lgkmcnt(3)
	v_cndmask_b32_e64 v3, v3, v56, s[14:15]
	ds_bpermute_b32 v55, v10, v6 offset:84
	ds_bpermute_b32 v56, v10, v2 offset:84
	s_waitcnt lgkmcnt(4)
	v_cndmask_b32_e64 v3, v3, v34, s[16:17]
	s_waitcnt lgkmcnt(3)
	v_cndmask_b32_e64 v3, v3, v52, s[0:1]
	ds_bpermute_b32 v34, v10, v1 offset:84
	s_waitcnt lgkmcnt(3)
	v_cndmask_b32_e64 v3, v3, v53, s[2:3]
	ds_bpermute_b32 v52, v10, v18 offset:88
	ds_bpermute_b32 v53, v10, v19 offset:88
	s_waitcnt lgkmcnt(4)
	v_cndmask_b32_e64 v3, v3, v55, s[4:5]
	ds_bpermute_b32 v55, v10, v17 offset:88
	s_waitcnt lgkmcnt(4)
	v_cndmask_b32_e64 v3, v3, v56, s[6:7]
	ds_bpermute_b32 v56, v10, v13 offset:88
	s_waitcnt lgkmcnt(4)
	v_cndmask_b32_e64 v67, v3, v34, s[28:29]
	ds_bpermute_b32 v34, v10, v16 offset:88
	s_waitcnt lgkmcnt(3)
	v_cndmask_b32_e64 v3, v52, v53, s[62:63]
	ds_bpermute_b32 v52, v10, v15 offset:88
	ds_bpermute_b32 v53, v10, v14 offset:88
	s_waitcnt lgkmcnt(4)
	v_cndmask_b32_e64 v3, v3, v55, s[52:53]
	s_waitcnt lgkmcnt(3)
	v_cndmask_b32_e64 v3, v3, v56, s[54:55]
	ds_bpermute_b32 v55, v10, v11 offset:88
	s_waitcnt lgkmcnt(3)
	v_cndmask_b32_e64 v3, v3, v34, s[56:57]
	ds_bpermute_b32 v34, v10, v12 offset:88
	;; [unrolled: 3-line block ×25, first 2 shown]
	s_waitcnt lgkmcnt(3)
	v_cndmask_b32_e64 v3, v3, v34, s[2:3]
	s_waitcnt lgkmcnt(2)
	v_cndmask_b32_e64 v3, v3, v52, s[4:5]
	ds_bpermute_b32 v34, v10, v18 offset:92
	ds_bpermute_b32 v52, v10, v19 offset:92
	s_waitcnt lgkmcnt(3)
	v_cndmask_b32_e64 v3, v3, v53, s[6:7]
	ds_bpermute_b32 v53, v10, v17 offset:92
	s_waitcnt lgkmcnt(3)
	v_cndmask_b32_e64 v68, v3, v55, s[28:29]
	;; [unrolled: 3-line block ×22, first 2 shown]
	ds_bpermute_b32 v53, v10, v38 offset:92
	ds_bpermute_b32 v55, v10, v37 offset:92
	s_waitcnt lgkmcnt(3)
	v_cndmask_b32_e64 v3, v3, v34, s[26:27]
	ds_bpermute_b32 v34, v10, v36 offset:92
	s_waitcnt lgkmcnt(3)
	v_cndmask_b32_e64 v3, v3, v52, s[8:9]
	s_waitcnt lgkmcnt(2)
	v_cndmask_b32_e64 v3, v3, v53, s[10:11]
	ds_bpermute_b32 v52, v10, v7 offset:92
	s_waitcnt lgkmcnt(2)
	v_cndmask_b32_e64 v3, v3, v55, s[12:13]
	ds_bpermute_b32 v53, v10, v0 offset:92
	;; [unrolled: 3-line block ×3, first 2 shown]
	ds_bpermute_b32 v55, v10, v6 offset:92
	s_waitcnt lgkmcnt(3)
	v_cndmask_b32_e64 v3, v3, v52, s[16:17]
	ds_bpermute_b32 v52, v10, v2 offset:92
	s_waitcnt lgkmcnt(3)
	v_cndmask_b32_e64 v3, v3, v53, s[0:1]
	s_waitcnt lgkmcnt(2)
	v_cndmask_b32_e64 v3, v3, v34, s[2:3]
	;; [unrolled: 2-line block ×3, first 2 shown]
	ds_bpermute_b32 v34, v10, v1 offset:92
	ds_bpermute_b32 v53, v10, v18 offset:96
	;; [unrolled: 1-line block ×4, first 2 shown]
	s_waitcnt lgkmcnt(4)
	v_cndmask_b32_e64 v3, v3, v52, s[6:7]
	ds_bpermute_b32 v52, v10, v13 offset:96
	s_waitcnt lgkmcnt(4)
	v_cndmask_b32_e64 v69, v3, v34, s[28:29]
	s_waitcnt lgkmcnt(2)
	v_cndmask_b32_e64 v3, v53, v55, s[62:63]
	ds_bpermute_b32 v34, v10, v16 offset:96
	s_waitcnt lgkmcnt(2)
	v_cndmask_b32_e64 v3, v3, v56, s[52:53]
	s_waitcnt lgkmcnt(1)
	v_cndmask_b32_e64 v3, v3, v52, s[54:55]
	ds_bpermute_b32 v52, v10, v15 offset:96
	ds_bpermute_b32 v53, v10, v14 offset:96
	ds_bpermute_b32 v55, v10, v11 offset:96
	s_waitcnt lgkmcnt(3)
	v_cndmask_b32_e64 v3, v3, v34, s[56:57]
	ds_bpermute_b32 v34, v10, v12 offset:96
	s_waitcnt lgkmcnt(3)
	v_cndmask_b32_e64 v3, v3, v52, s[58:59]
	s_waitcnt lgkmcnt(2)
	v_cndmask_b32_e64 v3, v3, v53, s[60:61]
	ds_bpermute_b32 v52, v10, v5 offset:96
	s_waitcnt lgkmcnt(2)
	v_cndmask_b32_e64 v3, v3, v55, s[42:43]
	s_waitcnt lgkmcnt(1)
	v_cndmask_b32_e64 v3, v3, v34, s[44:45]
	ds_bpermute_b32 v34, v10, v4 offset:96
	ds_bpermute_b32 v53, v10, v51 offset:96
	ds_bpermute_b32 v55, v10, v50 offset:96
	;; [unrolled: 15-line block ×5, first 2 shown]
	s_waitcnt lgkmcnt(3)
	v_cndmask_b32_e64 v3, v3, v34, s[12:13]
	ds_bpermute_b32 v34, v10, v35 offset:96
	s_waitcnt lgkmcnt(3)
	v_cndmask_b32_e64 v3, v3, v52, s[14:15]
	s_waitcnt lgkmcnt(2)
	v_cndmask_b32_e64 v3, v3, v53, s[16:17]
	;; [unrolled: 2-line block ×3, first 2 shown]
	ds_bpermute_b32 v52, v10, v6 offset:96
	s_waitcnt lgkmcnt(1)
	v_cndmask_b32_e64 v3, v3, v34, s[2:3]
	ds_bpermute_b32 v34, v10, v2 offset:96
	ds_bpermute_b32 v53, v10, v1 offset:96
	;; [unrolled: 1-line block ×5, first 2 shown]
	s_waitcnt lgkmcnt(5)
	v_cndmask_b32_e64 v3, v3, v52, s[4:5]
	s_waitcnt lgkmcnt(4)
	v_cndmask_b32_e64 v3, v3, v34, s[6:7]
	ds_bpermute_b32 v34, v10, v13 offset:100
	ds_bpermute_b32 v52, v10, v16 offset:100
	s_waitcnt lgkmcnt(5)
	v_cndmask_b32_e64 v70, v3, v53, s[28:29]
	ds_bpermute_b32 v53, v10, v15 offset:100
	s_waitcnt lgkmcnt(4)
	v_cndmask_b32_e64 v3, v55, v56, s[62:63]
	;; [unrolled: 3-line block ×28, first 2 shown]
	ds_bpermute_b32 v56, v10, v18 offset:104
	ds_bpermute_b32 v57, v10, v19 offset:104
	s_waitcnt lgkmcnt(5)
	v_cndmask_b32_e64 v3, v3, v34, s[2:3]
	ds_bpermute_b32 v34, v10, v17 offset:104
	s_waitcnt lgkmcnt(5)
	v_cndmask_b32_e64 v3, v3, v52, s[4:5]
	;; [unrolled: 3-line block ×31, first 2 shown]
	s_waitcnt lgkmcnt(3)
	v_cndmask_b32_e64 v3, v3, v52, s[2:3]
	s_waitcnt lgkmcnt(2)
	v_cndmask_b32_e64 v3, v3, v53, s[4:5]
	;; [unrolled: 2-line block ×4, first 2 shown]
	ds_bpermute_b32 v3, v10, v18 offset:108
	ds_bpermute_b32 v34, v10, v19 offset:108
	;; [unrolled: 1-line block ×6, first 2 shown]
	s_waitcnt lgkmcnt(4)
	v_cndmask_b32_e64 v3, v3, v34, s[62:63]
	ds_bpermute_b32 v34, v10, v14 offset:108
	s_waitcnt lgkmcnt(4)
	v_cndmask_b32_e64 v3, v3, v52, s[52:53]
	ds_bpermute_b32 v52, v10, v11 offset:108
	;; [unrolled: 3-line block ×25, first 2 shown]
	s_waitcnt lgkmcnt(4)
	v_cndmask_b32_e64 v3, v3, v34, s[16:17]
	s_waitcnt lgkmcnt(3)
	v_cndmask_b32_e64 v3, v3, v52, s[0:1]
	ds_bpermute_b32 v34, v10, v1 offset:108
	s_waitcnt lgkmcnt(3)
	v_cndmask_b32_e64 v3, v3, v53, s[2:3]
	ds_bpermute_b32 v52, v10, v18 offset:112
	ds_bpermute_b32 v53, v10, v19 offset:112
	s_waitcnt lgkmcnt(4)
	v_cndmask_b32_e64 v3, v3, v55, s[4:5]
	ds_bpermute_b32 v55, v10, v17 offset:112
	s_waitcnt lgkmcnt(4)
	v_cndmask_b32_e64 v3, v3, v56, s[6:7]
	ds_bpermute_b32 v56, v10, v13 offset:112
	ds_bpermute_b32 v57, v10, v16 offset:112
	s_waitcnt lgkmcnt(5)
	v_cndmask_b32_e64 v73, v3, v34, s[28:29]
	ds_bpermute_b32 v34, v10, v15 offset:112
	s_waitcnt lgkmcnt(4)
	v_cndmask_b32_e64 v3, v52, v53, s[62:63]
	;; [unrolled: 3-line block ×26, first 2 shown]
	s_waitcnt lgkmcnt(3)
	v_cndmask_b32_e64 v3, v3, v52, s[16:17]
	ds_bpermute_b32 v34, v10, v2 offset:112
	s_waitcnt lgkmcnt(3)
	v_cndmask_b32_e64 v3, v3, v53, s[0:1]
	ds_bpermute_b32 v52, v10, v1 offset:112
	;; [unrolled: 3-line block ×3, first 2 shown]
	ds_bpermute_b32 v55, v10, v19 offset:116
	s_waitcnt lgkmcnt(4)
	v_cndmask_b32_e64 v3, v3, v56, s[4:5]
	ds_bpermute_b32 v56, v10, v17 offset:116
	ds_bpermute_b32 v57, v10, v13 offset:116
	s_waitcnt lgkmcnt(5)
	v_cndmask_b32_e64 v3, v3, v34, s[6:7]
	ds_bpermute_b32 v34, v10, v16 offset:116
	s_waitcnt lgkmcnt(5)
	v_cndmask_b32_e64 v74, v3, v52, s[28:29]
	;; [unrolled: 3-line block ×26, first 2 shown]
	s_waitcnt lgkmcnt(3)
	v_cndmask_b32_e64 v3, v3, v52, s[14:15]
	ds_bpermute_b32 v34, v10, v6 offset:116
	s_waitcnt lgkmcnt(3)
	v_cndmask_b32_e64 v3, v3, v53, s[16:17]
	ds_bpermute_b32 v52, v10, v2 offset:116
	;; [unrolled: 3-line block ×4, first 2 shown]
	ds_bpermute_b32 v56, v10, v19 offset:120
	ds_bpermute_b32 v57, v10, v17 offset:120
	s_waitcnt lgkmcnt(5)
	v_cndmask_b32_e64 v3, v3, v34, s[4:5]
	ds_bpermute_b32 v34, v10, v13 offset:120
	s_waitcnt lgkmcnt(5)
	v_cndmask_b32_e64 v3, v3, v52, s[6:7]
	;; [unrolled: 3-line block ×29, first 2 shown]
	ds_bpermute_b32 v55, v10, v1 offset:120
	ds_bpermute_b32 v18, v10, v18 offset:124
	;; [unrolled: 1-line block ×3, first 2 shown]
	s_waitcnt lgkmcnt(6)
	v_cndmask_b32_e64 v3, v3, v56, s[0:1]
	ds_bpermute_b32 v17, v10, v17 offset:124
	s_waitcnt lgkmcnt(6)
	v_cndmask_b32_e64 v3, v3, v34, s[2:3]
	ds_bpermute_b32 v13, v10, v13 offset:124
	s_waitcnt lgkmcnt(6)
	v_cndmask_b32_e64 v3, v3, v52, s[4:5]
	ds_bpermute_b32 v16, v10, v16 offset:124
	s_waitcnt lgkmcnt(6)
	v_cndmask_b32_e64 v3, v3, v53, s[6:7]
	ds_bpermute_b32 v15, v10, v15 offset:124
	s_waitcnt lgkmcnt(6)
	v_cndmask_b32_e64 v76, v3, v55, s[28:29]
	s_waitcnt lgkmcnt(4)
	v_cndmask_b32_e64 v3, v18, v19, s[62:63]
	ds_bpermute_b32 v14, v10, v14 offset:124
	s_waitcnt lgkmcnt(4)
	v_cndmask_b32_e64 v3, v3, v17, s[52:53]
	ds_bpermute_b32 v11, v10, v11 offset:124
	;; [unrolled: 3-line block ×5, first 2 shown]
	s_waitcnt lgkmcnt(4)
	v_cndmask_b32_e64 v3, v3, v14, s[60:61]
	s_waitcnt lgkmcnt(3)
	v_cndmask_b32_e64 v3, v3, v11, s[42:43]
	;; [unrolled: 2-line block ×3, first 2 shown]
	ds_bpermute_b32 v13, v10, v51 offset:124
	s_waitcnt lgkmcnt(2)
	v_cndmask_b32_e64 v3, v3, v5, s[46:47]
	s_waitcnt lgkmcnt(1)
	v_cndmask_b32_e64 v3, v3, v4, s[48:49]
	ds_bpermute_b32 v4, v10, v50 offset:124
	ds_bpermute_b32 v5, v10, v49 offset:124
	;; [unrolled: 1-line block ×4, first 2 shown]
	s_waitcnt lgkmcnt(4)
	v_cndmask_b32_e64 v3, v3, v13, s[50:51]
	ds_bpermute_b32 v13, v10, v46 offset:124
	s_waitcnt lgkmcnt(4)
	v_cndmask_b32_e64 v3, v3, v4, s[30:31]
	ds_bpermute_b32 v4, v10, v45 offset:124
	s_waitcnt lgkmcnt(4)
	v_cndmask_b32_e64 v3, v3, v5, s[34:35]
	ds_bpermute_b32 v5, v10, v44 offset:124
	s_waitcnt lgkmcnt(4)
	v_cndmask_b32_e64 v3, v3, v11, s[36:37]
	ds_bpermute_b32 v11, v10, v43 offset:124
	s_waitcnt lgkmcnt(4)
	v_cndmask_b32_e64 v3, v3, v12, s[38:39]
	ds_bpermute_b32 v12, v10, v42 offset:124
	s_waitcnt lgkmcnt(4)
	v_cndmask_b32_e64 v3, v3, v13, s[40:41]
	ds_bpermute_b32 v13, v10, v41 offset:124
	s_waitcnt lgkmcnt(4)
	v_cndmask_b32_e64 v3, v3, v4, s[18:19]
	ds_bpermute_b32 v4, v10, v40 offset:124
	s_waitcnt lgkmcnt(4)
	v_cndmask_b32_e64 v3, v3, v5, s[20:21]
	ds_bpermute_b32 v5, v10, v38 offset:124
	s_waitcnt lgkmcnt(4)
	v_cndmask_b32_e64 v3, v3, v11, s[22:23]
	ds_bpermute_b32 v11, v10, v37 offset:124
	s_waitcnt lgkmcnt(4)
	v_cndmask_b32_e64 v3, v3, v12, s[24:25]
	ds_bpermute_b32 v12, v10, v36 offset:124
	s_waitcnt lgkmcnt(4)
	v_cndmask_b32_e64 v3, v3, v13, s[26:27]
	ds_bpermute_b32 v7, v10, v7 offset:124
	s_waitcnt lgkmcnt(4)
	v_cndmask_b32_e64 v3, v3, v4, s[8:9]
	ds_bpermute_b32 v0, v10, v0 offset:124
	s_waitcnt lgkmcnt(4)
	v_cndmask_b32_e64 v3, v3, v5, s[10:11]
	ds_bpermute_b32 v4, v10, v35 offset:124
	s_waitcnt lgkmcnt(4)
	v_cndmask_b32_e64 v3, v3, v11, s[12:13]
	ds_bpermute_b32 v5, v10, v6 offset:124
	s_waitcnt lgkmcnt(4)
	v_cndmask_b32_e64 v3, v3, v12, s[14:15]
	ds_bpermute_b32 v2, v10, v2 offset:124
	s_waitcnt lgkmcnt(4)
	v_cndmask_b32_e64 v3, v3, v7, s[16:17]
	ds_bpermute_b32 v1, v10, v1 offset:124
	s_waitcnt lgkmcnt(4)
	v_cndmask_b32_e64 v0, v3, v0, s[0:1]
	s_waitcnt lgkmcnt(3)
	v_cndmask_b32_e64 v0, v0, v4, s[2:3]
	;; [unrolled: 2-line block ×5, first 2 shown]
.LBB3_4:
	v_lshlrev_b16_e32 v0, 8, v33
	v_lshlrev_b16_e32 v1, 8, v54
	v_or_b32_sdwa v0, v32, v0 dst_sel:DWORD dst_unused:UNUSED_PAD src0_sel:BYTE_0 src1_sel:DWORD
	v_or_b32_sdwa v1, v39, v1 dst_sel:WORD_1 dst_unused:UNUSED_PAD src0_sel:BYTE_0 src1_sel:DWORD
	v_lshlrev_b16_e32 v6, 8, v23
	v_or_b32_sdwa v3, v0, v1 dst_sel:DWORD dst_unused:UNUSED_PAD src0_sel:WORD_0 src1_sel:DWORD
	v_lshlrev_b16_e32 v0, 8, v29
	v_lshlrev_b16_e32 v1, 8, v31
	v_or_b32_sdwa v0, v28, v0 dst_sel:DWORD dst_unused:UNUSED_PAD src0_sel:BYTE_0 src1_sel:DWORD
	v_or_b32_sdwa v1, v30, v1 dst_sel:WORD_1 dst_unused:UNUSED_PAD src0_sel:BYTE_0 src1_sel:DWORD
	v_or_b32_sdwa v6, v22, v6 dst_sel:WORD_1 dst_unused:UNUSED_PAD src0_sel:BYTE_0 src1_sel:DWORD
	v_or_b32_sdwa v2, v0, v1 dst_sel:DWORD dst_unused:UNUSED_PAD src0_sel:WORD_0 src1_sel:DWORD
	v_lshlrev_b16_e32 v0, 8, v25
	v_lshlrev_b16_e32 v1, 8, v27
	v_or_b32_sdwa v0, v24, v0 dst_sel:DWORD dst_unused:UNUSED_PAD src0_sel:BYTE_0 src1_sel:DWORD
	v_or_b32_sdwa v1, v26, v1 dst_sel:WORD_1 dst_unused:UNUSED_PAD src0_sel:BYTE_0 src1_sel:DWORD
	v_lshl_add_u64 v[4:5], s[66:67], 0, v[8:9]
	v_or_b32_sdwa v1, v0, v1 dst_sel:DWORD dst_unused:UNUSED_PAD src0_sel:WORD_0 src1_sel:DWORD
	v_lshlrev_b16_e32 v0, 8, v21
	v_or_b32_sdwa v0, v20, v0 dst_sel:DWORD dst_unused:UNUSED_PAD src0_sel:BYTE_0 src1_sel:DWORD
	v_or_b32_sdwa v0, v0, v6 dst_sel:DWORD dst_unused:UNUSED_PAD src0_sel:WORD_0 src1_sel:DWORD
	global_store_dwordx4 v[4:5], v[0:3], off
	v_lshlrev_b16_e32 v6, 8, v65
	v_or_b32_sdwa v6, v64, v6 dst_sel:WORD_1 dst_unused:UNUSED_PAD src0_sel:BYTE_0 src1_sel:DWORD
	v_lshlrev_b16_e32 v0, 8, v75
	v_lshlrev_b16_e32 v1, 8, v40
	v_or_b32_sdwa v0, v74, v0 dst_sel:DWORD dst_unused:UNUSED_PAD src0_sel:BYTE_0 src1_sel:DWORD
	v_or_b32_sdwa v1, v76, v1 dst_sel:WORD_1 dst_unused:UNUSED_PAD src0_sel:BYTE_0 src1_sel:DWORD
	s_nop 0
	v_or_b32_sdwa v3, v0, v1 dst_sel:DWORD dst_unused:UNUSED_PAD src0_sel:WORD_0 src1_sel:DWORD
	v_lshlrev_b16_e32 v0, 8, v71
	v_lshlrev_b16_e32 v1, 8, v73
	v_or_b32_sdwa v0, v70, v0 dst_sel:DWORD dst_unused:UNUSED_PAD src0_sel:BYTE_0 src1_sel:DWORD
	v_or_b32_sdwa v1, v72, v1 dst_sel:WORD_1 dst_unused:UNUSED_PAD src0_sel:BYTE_0 src1_sel:DWORD
	s_nop 0
	v_or_b32_sdwa v2, v0, v1 dst_sel:DWORD dst_unused:UNUSED_PAD src0_sel:WORD_0 src1_sel:DWORD
	;; [unrolled: 6-line block ×3, first 2 shown]
	v_lshlrev_b16_e32 v0, 8, v63
	v_or_b32_sdwa v0, v62, v0 dst_sel:DWORD dst_unused:UNUSED_PAD src0_sel:BYTE_0 src1_sel:DWORD
	v_or_b32_sdwa v0, v0, v6 dst_sel:DWORD dst_unused:UNUSED_PAD src0_sel:WORD_0 src1_sel:DWORD
	global_store_dwordx4 v[4:5], v[0:3], off offset:16
	s_endpgm
	.section	.rodata,"a",@progbits
	.p2align	6, 0x0
	.amdhsa_kernel _Z20warp_exchange_kernelILj32ELj64EN6common25StripedToBlockedShuffleOpEaEvPT2_S3_b
		.amdhsa_group_segment_fixed_size 0
		.amdhsa_private_segment_fixed_size 0
		.amdhsa_kernarg_size 20
		.amdhsa_user_sgpr_count 2
		.amdhsa_user_sgpr_dispatch_ptr 0
		.amdhsa_user_sgpr_queue_ptr 0
		.amdhsa_user_sgpr_kernarg_segment_ptr 1
		.amdhsa_user_sgpr_dispatch_id 0
		.amdhsa_user_sgpr_kernarg_preload_length 0
		.amdhsa_user_sgpr_kernarg_preload_offset 0
		.amdhsa_user_sgpr_private_segment_size 0
		.amdhsa_uses_dynamic_stack 0
		.amdhsa_enable_private_segment 0
		.amdhsa_system_sgpr_workgroup_id_x 1
		.amdhsa_system_sgpr_workgroup_id_y 0
		.amdhsa_system_sgpr_workgroup_id_z 0
		.amdhsa_system_sgpr_workgroup_info 0
		.amdhsa_system_vgpr_workitem_id 0
		.amdhsa_next_free_vgpr 79
		.amdhsa_next_free_sgpr 68
		.amdhsa_accum_offset 80
		.amdhsa_reserve_vcc 0
		.amdhsa_float_round_mode_32 0
		.amdhsa_float_round_mode_16_64 0
		.amdhsa_float_denorm_mode_32 3
		.amdhsa_float_denorm_mode_16_64 3
		.amdhsa_dx10_clamp 1
		.amdhsa_ieee_mode 1
		.amdhsa_fp16_overflow 0
		.amdhsa_tg_split 0
		.amdhsa_exception_fp_ieee_invalid_op 0
		.amdhsa_exception_fp_denorm_src 0
		.amdhsa_exception_fp_ieee_div_zero 0
		.amdhsa_exception_fp_ieee_overflow 0
		.amdhsa_exception_fp_ieee_underflow 0
		.amdhsa_exception_fp_ieee_inexact 0
		.amdhsa_exception_int_div_zero 0
	.end_amdhsa_kernel
	.section	.text._Z20warp_exchange_kernelILj32ELj64EN6common25StripedToBlockedShuffleOpEaEvPT2_S3_b,"axG",@progbits,_Z20warp_exchange_kernelILj32ELj64EN6common25StripedToBlockedShuffleOpEaEvPT2_S3_b,comdat
.Lfunc_end3:
	.size	_Z20warp_exchange_kernelILj32ELj64EN6common25StripedToBlockedShuffleOpEaEvPT2_S3_b, .Lfunc_end3-_Z20warp_exchange_kernelILj32ELj64EN6common25StripedToBlockedShuffleOpEaEvPT2_S3_b
                                        ; -- End function
	.section	.AMDGPU.csdata,"",@progbits
; Kernel info:
; codeLenInByte = 41204
; NumSgprs: 74
; NumVgprs: 79
; NumAgprs: 0
; TotalNumVgprs: 79
; ScratchSize: 0
; MemoryBound: 0
; FloatMode: 240
; IeeeMode: 1
; LDSByteSize: 0 bytes/workgroup (compile time only)
; SGPRBlocks: 9
; VGPRBlocks: 9
; NumSGPRsForWavesPerEU: 74
; NumVGPRsForWavesPerEU: 79
; AccumOffset: 80
; Occupancy: 6
; WaveLimiterHint : 0
; COMPUTE_PGM_RSRC2:SCRATCH_EN: 0
; COMPUTE_PGM_RSRC2:USER_SGPR: 2
; COMPUTE_PGM_RSRC2:TRAP_HANDLER: 0
; COMPUTE_PGM_RSRC2:TGID_X_EN: 1
; COMPUTE_PGM_RSRC2:TGID_Y_EN: 0
; COMPUTE_PGM_RSRC2:TGID_Z_EN: 0
; COMPUTE_PGM_RSRC2:TIDIG_COMP_CNT: 0
; COMPUTE_PGM_RSRC3_GFX90A:ACCUM_OFFSET: 19
; COMPUTE_PGM_RSRC3_GFX90A:TG_SPLIT: 0
	.section	.text._Z20warp_exchange_kernelILj8ELj32EN6common25StripedToBlockedShuffleOpEdEvPT2_S3_b,"axG",@progbits,_Z20warp_exchange_kernelILj8ELj32EN6common25StripedToBlockedShuffleOpEdEvPT2_S3_b,comdat
	.protected	_Z20warp_exchange_kernelILj8ELj32EN6common25StripedToBlockedShuffleOpEdEvPT2_S3_b ; -- Begin function _Z20warp_exchange_kernelILj8ELj32EN6common25StripedToBlockedShuffleOpEdEvPT2_S3_b
	.globl	_Z20warp_exchange_kernelILj8ELj32EN6common25StripedToBlockedShuffleOpEdEvPT2_S3_b
	.p2align	8
	.type	_Z20warp_exchange_kernelILj8ELj32EN6common25StripedToBlockedShuffleOpEdEvPT2_S3_b,@function
_Z20warp_exchange_kernelILj8ELj32EN6common25StripedToBlockedShuffleOpEdEvPT2_S3_b: ; @_Z20warp_exchange_kernelILj8ELj32EN6common25StripedToBlockedShuffleOpEdEvPT2_S3_b
; %bb.0:
	s_load_dwordx4 s[4:7], s[0:1], 0x0
	s_load_dword s2, s[0:1], 0x10
	v_lshlrev_b32_e32 v1, 6, v0
	v_lshlrev_b32_e32 v0, 3, v0
	s_waitcnt lgkmcnt(0)
	global_load_dwordx4 v[2:5], v1, s[4:5] offset:48
	global_load_dwordx4 v[10:13], v1, s[4:5] offset:32
	;; [unrolled: 1-line block ×3, first 2 shown]
	global_load_dwordx4 v[6:9], v1, s[4:5]
	v_mbcnt_lo_u32_b32 v1, -1, 0
	v_mbcnt_hi_u32_b32 v18, -1, v1
	v_and_b32_e32 v38, 0x60, v18
	v_add_u32_e32 v1, 28, v18
	v_and_or_b32 v1, v1, 31, v38
	v_bfe_u32 v19, v18, 2, 3
	s_bitcmp0_b32 s2, 0
	v_lshlrev_b32_e32 v1, 2, v1
	v_add_u32_e32 v45, 24, v18
	v_add_u32_e32 v44, 20, v18
	v_lshlrev_b32_e32 v43, 2, v18
	v_add_u32_e32 v42, 12, v18
	v_add_u32_e32 v41, 8, v18
	;; [unrolled: 1-line block ×3, first 2 shown]
	v_lshrrev_b32_e32 v37, 2, v18
	v_lshlrev_b32_e32 v39, 3, v19
	v_xor_b32_e32 v36, 4, v19
	v_and_b32_e32 v34, 3, v18
	v_add_u32_e32 v35, -1, v18
	s_cbranch_scc0 .LBB4_2
; %bb.1:
	s_waitcnt vmcnt(0)
	ds_bpermute_b32 v18, v1, v8
	ds_bpermute_b32 v19, v1, v9
	v_and_or_b32 v20, v45, 31, v38
	v_lshlrev_b32_e32 v46, 2, v20
	v_add_u32_e32 v32, -1, v37
	ds_bpermute_b32 v20, v46, v14
	ds_bpermute_b32 v21, v46, v15
	v_and_b32_e32 v32, 7, v32
	v_and_or_b32 v22, v44, 31, v38
	v_lshlrev_b32_e32 v32, 3, v32
	scratch_store_dwordx4 off, v[6:9], off
	scratch_store_dwordx4 off, v[14:17], off offset:16
	scratch_store_dwordx4 off, v[10:13], off offset:32
	;; [unrolled: 1-line block ×3, first 2 shown]
	v_lshlrev_b32_e32 v47, 2, v22
	scratch_store_dwordx2 v39, v[6:7], off
	s_waitcnt lgkmcnt(2)
	scratch_store_dwordx2 v32, v[18:19], off
	v_add_u32_e32 v18, 6, v37
	ds_bpermute_b32 v22, v47, v16
	ds_bpermute_b32 v23, v47, v17
	v_xor_b32_e32 v48, 64, v43
	v_and_b32_e32 v18, 7, v18
	ds_bpermute_b32 v24, v48, v10
	ds_bpermute_b32 v25, v48, v11
	v_lshlrev_b32_e32 v18, 3, v18
	v_and_or_b32 v26, v42, 31, v38
	s_waitcnt lgkmcnt(4)
	scratch_store_dwordx2 v18, v[20:21], off
	v_add_u32_e32 v18, 5, v37
	v_lshlrev_b32_e32 v49, 2, v26
	v_and_b32_e32 v18, 7, v18
	ds_bpermute_b32 v26, v49, v12
	ds_bpermute_b32 v27, v49, v13
	v_lshlrev_b32_e32 v18, 3, v18
	v_and_or_b32 v28, v41, 31, v38
	s_waitcnt lgkmcnt(4)
	scratch_store_dwordx2 v18, v[22:23], off
	v_lshlrev_b32_e32 v18, 3, v36
	v_lshlrev_b32_e32 v50, 2, v28
	s_waitcnt lgkmcnt(2)
	scratch_store_dwordx2 v18, v[24:25], off
	v_add_u32_e32 v18, -1, v36
	ds_bpermute_b32 v28, v50, v2
	ds_bpermute_b32 v29, v50, v3
	v_and_b32_e32 v18, 7, v18
	v_and_or_b32 v30, v40, 31, v38
	v_lshlrev_b32_e32 v18, 3, v18
	v_lshlrev_b32_e32 v51, 2, v30
	s_waitcnt lgkmcnt(2)
	scratch_store_dwordx2 v18, v[26:27], off
	v_add_u32_e32 v18, 6, v36
	ds_bpermute_b32 v30, v51, v4
	ds_bpermute_b32 v31, v51, v5
	v_and_b32_e32 v18, 7, v18
	v_lshlrev_b32_e32 v18, 3, v18
	s_waitcnt lgkmcnt(2)
	scratch_store_dwordx2 v18, v[28:29], off
	v_add_u32_e32 v18, 5, v36
	v_and_b32_e32 v18, 7, v18
	v_lshlrev_b32_e32 v18, 3, v18
	s_waitcnt lgkmcnt(0)
	scratch_store_dwordx2 v18, v[30:31], off
	scratch_load_dwordx4 v[18:21], off, off offset:8
	s_nop 0
	scratch_load_dwordx4 v[22:25], off, off offset:24
	scratch_load_dwordx4 v[26:29], off, off offset:40
	scratch_load_dwordx2 v[30:31], off, off offset:56
	scratch_load_dwordx2 v[32:33], off, off
	v_lshlrev_b32_e32 v52, 3, v34
	v_and_b32_e32 v53, 3, v35
	v_xor_b32_e32 v54, 2, v34
	v_lshlrev_b32_e32 v53, 3, v53
	v_lshlrev_b32_e32 v55, 3, v54
	s_waitcnt vmcnt(4)
	ds_bpermute_b32 v18, v51, v18
	ds_bpermute_b32 v19, v51, v19
	ds_bpermute_b32 v20, v50, v20
	ds_bpermute_b32 v21, v50, v21
	s_waitcnt vmcnt(3)
	ds_bpermute_b32 v22, v49, v22
	ds_bpermute_b32 v23, v49, v23
	ds_bpermute_b32 v49, v48, v24
	ds_bpermute_b32 v48, v48, v25
	;; [unrolled: 5-line block ×3, first 2 shown]
	s_waitcnt vmcnt(1)
	ds_bpermute_b32 v30, v1, v30
	ds_bpermute_b32 v31, v1, v31
	s_waitcnt vmcnt(0)
	scratch_store_dwordx2 v52, v[32:33], off offset:64
	s_waitcnt lgkmcnt(11)
	v_mov_b32_dpp v20, v20 quad_perm:[3,0,1,2] row_mask:0xf bank_mask:0xf
	s_waitcnt lgkmcnt(10)
	v_mov_b32_dpp v21, v21 quad_perm:[3,0,1,2] row_mask:0xf bank_mask:0xf
	;; [unrolled: 2-line block ×6, first 2 shown]
	scratch_store_dwordx2 v52, v[18:19], off offset:96
	scratch_store_dwordx2 v53, v[20:21], off offset:64
	;; [unrolled: 1-line block ×3, first 2 shown]
	v_add_u32_e32 v18, 3, v54
	v_and_b32_e32 v19, 3, v18
	s_waitcnt lgkmcnt(5)
	v_mov_b32_dpp v28, v28 quad_perm:[1,2,3,0] row_mask:0xf bank_mask:0xf
	s_waitcnt lgkmcnt(4)
	v_mov_b32_dpp v29, v29 quad_perm:[1,2,3,0] row_mask:0xf bank_mask:0xf
	v_lshlrev_b32_e32 v19, 3, v19
	scratch_store_dwordx2 v19, v[28:29], off offset:64
	s_waitcnt lgkmcnt(3)
	v_mov_b32_dpp v26, v26 quad_perm:[2,3,0,1] row_mask:0xf bank_mask:0xf
	s_waitcnt lgkmcnt(2)
	v_mov_b32_dpp v27, v27 quad_perm:[2,3,0,1] row_mask:0xf bank_mask:0xf
	scratch_load_dwordx4 v[20:23], off, off offset:72
	s_nop 0
	scratch_store_dwordx2 v53, v[24:25], off offset:96
	scratch_store_dwordx2 v55, v[26:27], off offset:96
	s_waitcnt lgkmcnt(1)
	v_mov_b32_dpp v30, v30 quad_perm:[1,2,3,0] row_mask:0xf bank_mask:0xf
	s_waitcnt lgkmcnt(0)
	v_mov_b32_dpp v31, v31 quad_perm:[1,2,3,0] row_mask:0xf bank_mask:0xf
	v_lshl_or_b32 v18, v18, 3, 32
	scratch_load_dwordx2 v[24:25], off, off offset:88
	s_waitcnt vmcnt(3)
	v_mov_b32_dpp v32, v20 quad_perm:[1,2,3,0] row_mask:0xf bank_mask:0xf
	scratch_store_dwordx2 v18, v[30:31], off offset:64
	scratch_load_dwordx4 v[46:49], off, off offset:104
	scratch_load_dwordx2 v[50:51], off, off offset:120
	s_nop 0
	scratch_load_dwordx2 v[30:31], off, off offset:64
	scratch_load_dwordx2 v[18:19], off, off offset:96
	v_mov_b32_dpp v33, v21 quad_perm:[1,2,3,0] row_mask:0xf bank_mask:0xf
	v_mov_b32_dpp v26, v22 quad_perm:[2,3,0,1] row_mask:0xf bank_mask:0xf
	;; [unrolled: 1-line block ×3, first 2 shown]
	s_waitcnt vmcnt(5)
	v_mov_b32_dpp v28, v24 quad_perm:[3,0,1,2] row_mask:0xf bank_mask:0xf
	v_mov_b32_dpp v29, v25 quad_perm:[3,0,1,2] row_mask:0xf bank_mask:0xf
	s_waitcnt vmcnt(3)
	v_mov_b32_dpp v20, v46 quad_perm:[1,2,3,0] row_mask:0xf bank_mask:0xf
	v_mov_b32_dpp v21, v47 quad_perm:[1,2,3,0] row_mask:0xf bank_mask:0xf
	;; [unrolled: 1-line block ×4, first 2 shown]
	s_waitcnt vmcnt(2)
	v_mov_b32_dpp v24, v50 quad_perm:[3,0,1,2] row_mask:0xf bank_mask:0xf
	v_mov_b32_dpp v25, v51 quad_perm:[3,0,1,2] row_mask:0xf bank_mask:0xf
	s_cbranch_execz .LBB4_3
	s_branch .LBB4_4
.LBB4_2:
                                        ; implicit-def: $vgpr24_vgpr25
                                        ; implicit-def: $vgpr20_vgpr21
                                        ; implicit-def: $vgpr28_vgpr29
                                        ; implicit-def: $vgpr32_vgpr33
.LBB4_3:
	s_waitcnt vmcnt(0)
	scratch_store_dwordx4 off, v[6:9], off
	scratch_store_dwordx4 off, v[14:17], off offset:16
	scratch_store_dwordx4 off, v[10:13], off offset:32
	;; [unrolled: 1-line block ×3, first 2 shown]
	ds_bpermute_b32 v8, v1, v8
	ds_bpermute_b32 v9, v1, v9
	v_and_or_b32 v18, v45, 31, v38
	v_lshlrev_b32_e32 v18, 2, v18
	scratch_store_dwordx2 v39, v[6:7], off
	v_add_u32_e32 v6, -1, v37
	ds_bpermute_b32 v14, v18, v14
	ds_bpermute_b32 v15, v18, v15
	v_and_b32_e32 v6, 7, v6
	v_and_or_b32 v19, v44, 31, v38
	v_lshlrev_b32_e32 v6, 3, v6
	v_lshlrev_b32_e32 v19, 2, v19
	s_waitcnt lgkmcnt(2)
	scratch_store_dwordx2 v6, v[8:9], off
	v_add_u32_e32 v6, 6, v37
	ds_bpermute_b32 v16, v19, v16
	ds_bpermute_b32 v17, v19, v17
	v_xor_b32_e32 v20, 64, v43
	v_and_b32_e32 v6, 7, v6
	ds_bpermute_b32 v10, v20, v10
	ds_bpermute_b32 v11, v20, v11
	v_lshlrev_b32_e32 v6, 3, v6
	v_and_or_b32 v21, v42, 31, v38
	s_waitcnt lgkmcnt(4)
	scratch_store_dwordx2 v6, v[14:15], off
	v_add_u32_e32 v6, 5, v37
	v_lshlrev_b32_e32 v21, 2, v21
	v_and_b32_e32 v6, 7, v6
	ds_bpermute_b32 v12, v21, v12
	ds_bpermute_b32 v13, v21, v13
	v_lshlrev_b32_e32 v6, 3, v6
	v_and_or_b32 v22, v41, 31, v38
	s_waitcnt lgkmcnt(4)
	scratch_store_dwordx2 v6, v[16:17], off
	v_lshlrev_b32_e32 v6, 3, v36
	v_lshlrev_b32_e32 v22, 2, v22
	s_waitcnt lgkmcnt(2)
	scratch_store_dwordx2 v6, v[10:11], off
	v_add_u32_e32 v6, -1, v36
	ds_bpermute_b32 v2, v22, v2
	ds_bpermute_b32 v3, v22, v3
	v_and_b32_e32 v6, 7, v6
	v_and_or_b32 v23, v40, 31, v38
	v_lshlrev_b32_e32 v6, 3, v6
	v_lshlrev_b32_e32 v23, 2, v23
	s_waitcnt lgkmcnt(2)
	scratch_store_dwordx2 v6, v[12:13], off
	v_add_u32_e32 v6, 6, v36
	ds_bpermute_b32 v4, v23, v4
	ds_bpermute_b32 v5, v23, v5
	v_and_b32_e32 v6, 7, v6
	v_lshlrev_b32_e32 v6, 3, v6
	s_waitcnt lgkmcnt(2)
	scratch_store_dwordx2 v6, v[2:3], off
	v_add_u32_e32 v2, 5, v36
	v_and_b32_e32 v2, 7, v2
	v_lshlrev_b32_e32 v2, 3, v2
	s_waitcnt lgkmcnt(0)
	scratch_store_dwordx2 v2, v[4:5], off
	scratch_load_dwordx4 v[2:5], off, off offset:8
	s_nop 0
	scratch_load_dwordx4 v[6:9], off, off offset:24
	scratch_load_dwordx4 v[10:13], off, off offset:40
	scratch_load_dwordx2 v[14:15], off, off offset:56
	scratch_load_dwordx2 v[16:17], off, off
	v_xor_b32_e32 v26, 2, v34
	v_lshlrev_b32_e32 v24, 3, v34
	v_and_b32_e32 v25, 3, v35
	v_lshlrev_b32_e32 v25, 3, v25
	v_lshlrev_b32_e32 v27, 3, v26
	s_waitcnt vmcnt(4)
	ds_bpermute_b32 v2, v23, v2
	ds_bpermute_b32 v3, v23, v3
	;; [unrolled: 1-line block ×3, first 2 shown]
	s_waitcnt vmcnt(1)
	ds_bpermute_b32 v14, v1, v14
	ds_bpermute_b32 v1, v1, v15
	;; [unrolled: 1-line block ×11, first 2 shown]
	s_waitcnt lgkmcnt(9)
	v_mov_b32_dpp v15, v1 quad_perm:[1,2,3,0] row_mask:0xf bank_mask:0xf
	v_add_u32_e32 v1, 3, v26
	s_waitcnt vmcnt(0)
	scratch_store_dwordx2 v24, v[16:17], off offset:64
	v_mov_b32_dpp v4, v4 quad_perm:[3,0,1,2] row_mask:0xf bank_mask:0xf
	s_waitcnt lgkmcnt(8)
	v_mov_b32_dpp v5, v5 quad_perm:[3,0,1,2] row_mask:0xf bank_mask:0xf
	s_waitcnt lgkmcnt(7)
	v_mov_b32_dpp v8, v8 quad_perm:[2,3,0,1] row_mask:0xf bank_mask:0xf
	s_waitcnt lgkmcnt(6)
	v_mov_b32_dpp v9, v9 quad_perm:[2,3,0,1] row_mask:0xf bank_mask:0xf
	scratch_store_dwordx2 v24, v[2:3], off offset:96
	scratch_store_dwordx2 v25, v[4:5], off offset:64
	;; [unrolled: 1-line block ×3, first 2 shown]
	v_and_b32_e32 v2, 3, v1
	s_waitcnt lgkmcnt(5)
	v_mov_b32_dpp v12, v12 quad_perm:[1,2,3,0] row_mask:0xf bank_mask:0xf
	s_waitcnt lgkmcnt(4)
	v_mov_b32_dpp v13, v13 quad_perm:[1,2,3,0] row_mask:0xf bank_mask:0xf
	v_lshlrev_b32_e32 v2, 3, v2
	s_waitcnt lgkmcnt(3)
	v_mov_b32_dpp v6, v6 quad_perm:[3,0,1,2] row_mask:0xf bank_mask:0xf
	s_waitcnt lgkmcnt(2)
	v_mov_b32_dpp v7, v7 quad_perm:[3,0,1,2] row_mask:0xf bank_mask:0xf
	scratch_store_dwordx2 v2, v[12:13], off offset:64
	s_waitcnt lgkmcnt(1)
	v_mov_b32_dpp v10, v10 quad_perm:[2,3,0,1] row_mask:0xf bank_mask:0xf
	s_waitcnt lgkmcnt(0)
	v_mov_b32_dpp v11, v11 quad_perm:[2,3,0,1] row_mask:0xf bank_mask:0xf
	scratch_load_dwordx4 v[2:5], off, off offset:72
	s_nop 0
	scratch_store_dwordx2 v25, v[6:7], off offset:96
	scratch_store_dwordx2 v27, v[10:11], off offset:96
	v_mov_b32_dpp v14, v14 quad_perm:[1,2,3,0] row_mask:0xf bank_mask:0xf
	v_lshl_or_b32 v1, v1, 3, 32
	scratch_load_dwordx2 v[10:11], off, off offset:88
	s_waitcnt vmcnt(3)
	v_mov_b32_dpp v32, v2 quad_perm:[1,2,3,0] row_mask:0xf bank_mask:0xf
	scratch_store_dwordx2 v1, v[14:15], off offset:64
	scratch_load_dwordx4 v[6:9], off, off offset:104
	scratch_load_dwordx2 v[12:13], off, off offset:120
	scratch_load_dwordx2 v[30:31], off, off offset:64
	;; [unrolled: 1-line block ×3, first 2 shown]
	v_mov_b32_dpp v33, v3 quad_perm:[1,2,3,0] row_mask:0xf bank_mask:0xf
	v_mov_b32_dpp v26, v4 quad_perm:[2,3,0,1] row_mask:0xf bank_mask:0xf
	;; [unrolled: 1-line block ×3, first 2 shown]
	s_waitcnt vmcnt(5)
	v_mov_b32_dpp v28, v10 quad_perm:[3,0,1,2] row_mask:0xf bank_mask:0xf
	v_mov_b32_dpp v29, v11 quad_perm:[3,0,1,2] row_mask:0xf bank_mask:0xf
	s_waitcnt vmcnt(3)
	v_mov_b32_dpp v20, v6 quad_perm:[1,2,3,0] row_mask:0xf bank_mask:0xf
	v_mov_b32_dpp v21, v7 quad_perm:[1,2,3,0] row_mask:0xf bank_mask:0xf
	;; [unrolled: 1-line block ×4, first 2 shown]
	s_waitcnt vmcnt(2)
	v_mov_b32_dpp v24, v12 quad_perm:[3,0,1,2] row_mask:0xf bank_mask:0xf
	v_mov_b32_dpp v25, v13 quad_perm:[3,0,1,2] row_mask:0xf bank_mask:0xf
.LBB4_4:
	v_lshlrev_b32_e32 v0, 3, v0
	s_waitcnt vmcnt(1)
	global_store_dwordx4 v0, v[30:33], s[6:7]
	global_store_dwordx4 v0, v[26:29], s[6:7] offset:16
	s_waitcnt vmcnt(2)
	global_store_dwordx4 v0, v[18:21], s[6:7] offset:32
	global_store_dwordx4 v0, v[22:25], s[6:7] offset:48
	s_endpgm
	.section	.rodata,"a",@progbits
	.p2align	6, 0x0
	.amdhsa_kernel _Z20warp_exchange_kernelILj8ELj32EN6common25StripedToBlockedShuffleOpEdEvPT2_S3_b
		.amdhsa_group_segment_fixed_size 0
		.amdhsa_private_segment_fixed_size 144
		.amdhsa_kernarg_size 20
		.amdhsa_user_sgpr_count 2
		.amdhsa_user_sgpr_dispatch_ptr 0
		.amdhsa_user_sgpr_queue_ptr 0
		.amdhsa_user_sgpr_kernarg_segment_ptr 1
		.amdhsa_user_sgpr_dispatch_id 0
		.amdhsa_user_sgpr_kernarg_preload_length 0
		.amdhsa_user_sgpr_kernarg_preload_offset 0
		.amdhsa_user_sgpr_private_segment_size 0
		.amdhsa_uses_dynamic_stack 0
		.amdhsa_enable_private_segment 1
		.amdhsa_system_sgpr_workgroup_id_x 1
		.amdhsa_system_sgpr_workgroup_id_y 0
		.amdhsa_system_sgpr_workgroup_id_z 0
		.amdhsa_system_sgpr_workgroup_info 0
		.amdhsa_system_vgpr_workitem_id 0
		.amdhsa_next_free_vgpr 56
		.amdhsa_next_free_sgpr 8
		.amdhsa_accum_offset 56
		.amdhsa_reserve_vcc 0
		.amdhsa_float_round_mode_32 0
		.amdhsa_float_round_mode_16_64 0
		.amdhsa_float_denorm_mode_32 3
		.amdhsa_float_denorm_mode_16_64 3
		.amdhsa_dx10_clamp 1
		.amdhsa_ieee_mode 1
		.amdhsa_fp16_overflow 0
		.amdhsa_tg_split 0
		.amdhsa_exception_fp_ieee_invalid_op 0
		.amdhsa_exception_fp_denorm_src 0
		.amdhsa_exception_fp_ieee_div_zero 0
		.amdhsa_exception_fp_ieee_overflow 0
		.amdhsa_exception_fp_ieee_underflow 0
		.amdhsa_exception_fp_ieee_inexact 0
		.amdhsa_exception_int_div_zero 0
	.end_amdhsa_kernel
	.section	.text._Z20warp_exchange_kernelILj8ELj32EN6common25StripedToBlockedShuffleOpEdEvPT2_S3_b,"axG",@progbits,_Z20warp_exchange_kernelILj8ELj32EN6common25StripedToBlockedShuffleOpEdEvPT2_S3_b,comdat
.Lfunc_end4:
	.size	_Z20warp_exchange_kernelILj8ELj32EN6common25StripedToBlockedShuffleOpEdEvPT2_S3_b, .Lfunc_end4-_Z20warp_exchange_kernelILj8ELj32EN6common25StripedToBlockedShuffleOpEdEvPT2_S3_b
                                        ; -- End function
	.section	.AMDGPU.csdata,"",@progbits
; Kernel info:
; codeLenInByte = 2140
; NumSgprs: 14
; NumVgprs: 56
; NumAgprs: 0
; TotalNumVgprs: 56
; ScratchSize: 144
; MemoryBound: 0
; FloatMode: 240
; IeeeMode: 1
; LDSByteSize: 0 bytes/workgroup (compile time only)
; SGPRBlocks: 1
; VGPRBlocks: 6
; NumSGPRsForWavesPerEU: 14
; NumVGPRsForWavesPerEU: 56
; AccumOffset: 56
; Occupancy: 8
; WaveLimiterHint : 0
; COMPUTE_PGM_RSRC2:SCRATCH_EN: 1
; COMPUTE_PGM_RSRC2:USER_SGPR: 2
; COMPUTE_PGM_RSRC2:TRAP_HANDLER: 0
; COMPUTE_PGM_RSRC2:TGID_X_EN: 1
; COMPUTE_PGM_RSRC2:TGID_Y_EN: 0
; COMPUTE_PGM_RSRC2:TGID_Z_EN: 0
; COMPUTE_PGM_RSRC2:TIDIG_COMP_CNT: 0
; COMPUTE_PGM_RSRC3_GFX90A:ACCUM_OFFSET: 13
; COMPUTE_PGM_RSRC3_GFX90A:TG_SPLIT: 0
	.section	.text._Z20warp_exchange_kernelILj16ELj64EN6common25StripedToBlockedShuffleOpEfEvPT2_S3_b,"axG",@progbits,_Z20warp_exchange_kernelILj16ELj64EN6common25StripedToBlockedShuffleOpEfEvPT2_S3_b,comdat
	.protected	_Z20warp_exchange_kernelILj16ELj64EN6common25StripedToBlockedShuffleOpEfEvPT2_S3_b ; -- Begin function _Z20warp_exchange_kernelILj16ELj64EN6common25StripedToBlockedShuffleOpEfEvPT2_S3_b
	.globl	_Z20warp_exchange_kernelILj16ELj64EN6common25StripedToBlockedShuffleOpEfEvPT2_S3_b
	.p2align	8
	.type	_Z20warp_exchange_kernelILj16ELj64EN6common25StripedToBlockedShuffleOpEfEvPT2_S3_b,@function
_Z20warp_exchange_kernelILj16ELj64EN6common25StripedToBlockedShuffleOpEfEvPT2_S3_b: ; @_Z20warp_exchange_kernelILj16ELj64EN6common25StripedToBlockedShuffleOpEfEvPT2_S3_b
; %bb.0:
	s_load_dwordx4 s[96:99], s[0:1], 0x0
	s_load_dword s2, s[0:1], 0x10
	v_lshlrev_b32_e32 v1, 6, v0
	v_lshlrev_b32_e32 v19, 4, v0
	s_waitcnt lgkmcnt(0)
	global_load_dwordx4 v[14:17], v1, s[96:97]
	global_load_dwordx4 v[2:5], v1, s[96:97] offset:48
	global_load_dwordx4 v[6:9], v1, s[96:97] offset:32
	;; [unrolled: 1-line block ×3, first 2 shown]
	v_mbcnt_lo_u32_b32 v1, -1, 0
	v_mbcnt_hi_u32_b32 v20, -1, v1
	v_bfe_u32 v35, v20, 2, 4
	v_cmp_eq_u32_e32 vcc, 15, v35
	v_and_b32_e32 v0, 64, v20
	v_add_u32_e32 v1, 60, v20
	v_add_u32_e32 v18, 56, v20
	;; [unrolled: 1-line block ×7, first 2 shown]
	v_lshlrev_b32_e32 v26, 2, v20
	v_add_u32_e32 v27, 28, v20
	v_add_u32_e32 v28, 24, v20
	v_add_u32_e32 v29, 20, v20
	v_add_u32_e32 v30, 16, v20
	v_add_u32_e32 v31, 12, v20
	v_add_u32_e32 v32, 8, v20
	v_add_u32_e32 v33, 4, v20
	v_lshrrev_b32_e32 v34, 2, v20
	v_and_or_b32 v1, v1, 63, v0
	v_and_or_b32 v18, v18, 63, v0
	v_and_or_b32 v21, v21, 63, v0
	v_and_or_b32 v22, v22, 63, v0
	v_and_or_b32 v36, v23, 63, v0
	v_and_or_b32 v37, v24, 63, v0
	v_and_or_b32 v25, v25, 63, v0
	v_xor_b32_e32 v23, 0x80, v26
	v_and_or_b32 v26, v27, 63, v0
	v_and_or_b32 v38, v28, 63, v0
	;; [unrolled: 1-line block ×7, first 2 shown]
	v_lshlrev_b32_e32 v24, 2, v1
	v_lshlrev_b32_e32 v27, 2, v18
	;; [unrolled: 1-line block ×3, first 2 shown]
	v_add_u32_e32 v0, -1, v34
	v_add_u32_e32 v1, 14, v34
	v_add_u32_e32 v18, 13, v34
	v_and_b32_e32 v0, 15, v0
	v_and_b32_e32 v1, 15, v1
	;; [unrolled: 1-line block ×3, first 2 shown]
	v_lshlrev_b32_e32 v28, 2, v21
	v_lshlrev_b32_e32 v31, 2, v22
	;; [unrolled: 1-line block ×11, first 2 shown]
	s_bitcmp0_b32 s2, 0
	v_cmp_eq_u32_e64 s[72:73], 0, v0
	v_cmp_eq_u32_e64 s[70:71], 15, v0
	v_cmp_eq_u32_e64 s[0:1], 14, v0
	v_cmp_eq_u32_e64 s[2:3], 13, v0
	v_cmp_eq_u32_e64 s[4:5], 12, v0
	v_cmp_eq_u32_e64 s[6:7], 11, v0
	v_cmp_eq_u32_e64 s[8:9], 10, v0
	v_cmp_eq_u32_e64 s[10:11], 9, v0
	v_cmp_eq_u32_e64 s[12:13], 8, v0
	v_cmp_eq_u32_e64 s[14:15], 7, v0
	v_cmp_eq_u32_e64 s[16:17], 6, v0
	v_cmp_eq_u32_e64 s[18:19], 5, v0
	v_cmp_eq_u32_e64 s[20:21], 4, v0
	v_cmp_eq_u32_e64 s[22:23], 3, v0
	v_cmp_eq_u32_e64 s[24:25], 2, v0
	v_cmp_eq_u32_e64 s[26:27], 1, v0
	v_cmp_eq_u32_e64 s[28:29], 1, v1
	v_cmp_eq_u32_e64 s[30:31], 2, v1
	v_cmp_eq_u32_e64 s[34:35], 3, v1
	v_cmp_eq_u32_e64 s[36:37], 4, v1
	s_waitcnt vmcnt(2)
	v_cndmask_b32_e32 v63, v5, v14, vcc
	v_cmp_eq_u32_e32 vcc, 14, v35
	v_cmp_eq_u32_e64 s[38:39], 5, v1
	v_cmp_eq_u32_e64 s[40:41], 6, v1
	v_cndmask_b32_e32 v52, v4, v14, vcc
	v_cmp_eq_u32_e32 vcc, 13, v35
	v_cmp_eq_u32_e64 s[42:43], 7, v1
	v_cmp_eq_u32_e64 s[44:45], 8, v1
	;; [unrolled: 4-line block ×4, first 2 shown]
	s_waitcnt vmcnt(1)
	v_cndmask_b32_e32 v55, v9, v14, vcc
	v_cmp_eq_u32_e32 vcc, 10, v35
	v_cmp_eq_u32_e64 s[54:55], 13, v1
	v_cmp_eq_u32_e64 s[56:57], 14, v1
	v_cndmask_b32_e32 v57, v8, v14, vcc
	v_cmp_eq_u32_e32 vcc, 9, v35
	v_cmp_eq_u32_e64 s[58:59], 15, v1
	v_cmp_eq_u32_e64 s[60:61], 0, v1
	v_cndmask_b32_e32 v58, v7, v14, vcc
	v_cmp_eq_u32_e32 vcc, 8, v35
	v_cmp_eq_u32_e64 s[62:63], 0, v18
	v_cmp_eq_u32_e64 s[64:65], 15, v18
	v_cndmask_b32_e32 v59, v6, v14, vcc
	v_cmp_eq_u32_e32 vcc, 7, v35
	v_cmp_eq_u32_e64 s[66:67], 14, v18
	v_cmp_eq_u32_e64 s[68:69], 13, v18
	s_waitcnt vmcnt(0)
	v_cndmask_b32_e32 v60, v13, v14, vcc
	v_cmp_eq_u32_e32 vcc, 6, v35
	v_add_u32_e32 v68, 12, v34
	v_add_u32_e32 v56, 11, v34
	v_cndmask_b32_e32 v61, v12, v14, vcc
	v_cmp_eq_u32_e32 vcc, 5, v35
	v_add_u32_e32 v51, 10, v34
	v_add_u32_e32 v50, 9, v34
	v_cndmask_b32_e32 v62, v11, v14, vcc
	v_cmp_eq_u32_e32 vcc, 4, v35
	v_xor_b32_e32 v49, 8, v35
	v_cmp_eq_u32_e64 s[74:75], 12, v18
	v_cndmask_b32_e32 v64, v10, v14, vcc
	v_cmp_eq_u32_e32 vcc, 3, v35
	v_cmp_eq_u32_e64 s[76:77], 11, v18
	v_cmp_eq_u32_e64 s[78:79], 10, v18
	v_cndmask_b32_e32 v65, v17, v14, vcc
	v_cmp_eq_u32_e32 vcc, 2, v35
	v_cmp_eq_u32_e64 s[80:81], 9, v18
	;; [unrolled: 4-line block ×3, first 2 shown]
	v_cmp_eq_u32_e64 s[86:87], 6, v18
	v_cndmask_b32_e32 v67, v15, v14, vcc
	v_cmp_eq_u32_e64 s[88:89], 5, v18
	v_cmp_eq_u32_e64 s[90:91], 4, v18
	;; [unrolled: 1-line block ×5, first 2 shown]
	s_cbranch_scc0 .LBB5_2
; %bb.1:
	ds_bpermute_b32 v0, v24, v15
	ds_bpermute_b32 v1, v27, v16
	;; [unrolled: 1-line block ×4, first 2 shown]
	v_and_b32_e32 v22, 15, v68
	s_waitcnt lgkmcnt(3)
	v_cndmask_b32_e64 v25, v67, v0, s[26:27]
	s_waitcnt lgkmcnt(2)
	v_cndmask_b32_e64 v25, v25, v1, s[28:29]
	v_cndmask_b32_e64 v26, v66, v0, s[24:25]
	s_waitcnt lgkmcnt(1)
	v_cndmask_b32_e64 v25, v25, v18, s[96:97]
	v_cmp_eq_u32_e32 vcc, 1, v22
	v_cndmask_b32_e64 v26, v26, v1, s[30:31]
	v_cndmask_b32_e64 v29, v65, v0, s[22:23]
	s_waitcnt lgkmcnt(0)
	v_cndmask_b32_e32 v25, v25, v21, vcc
	v_cndmask_b32_e64 v26, v26, v18, s[94:95]
	v_cmp_eq_u32_e32 vcc, 2, v22
	v_cndmask_b32_e64 v29, v29, v1, s[34:35]
	v_cndmask_b32_e64 v30, v64, v0, s[20:21]
	v_cndmask_b32_e32 v26, v26, v21, vcc
	v_cndmask_b32_e64 v29, v29, v18, s[92:93]
	v_cmp_eq_u32_e32 vcc, 3, v22
	v_cndmask_b32_e64 v30, v30, v1, s[36:37]
	v_cndmask_b32_e64 v33, v62, v0, s[18:19]
	;; [unrolled: 5-line block ×11, first 2 shown]
	v_cndmask_b32_e64 v72, v63, v0, s[70:71]
	v_cndmask_b32_e64 v0, v14, v0, s[72:73]
	v_cndmask_b32_e32 v69, v69, v21, vcc
	v_cndmask_b32_e64 v70, v70, v18, s[68:69]
	v_cmp_eq_u32_e32 vcc, 13, v22
	v_cndmask_b32_e64 v71, v71, v1, s[56:57]
	v_cndmask_b32_e64 v72, v72, v1, s[58:59]
	;; [unrolled: 1-line block ×3, first 2 shown]
	ds_bpermute_b32 v1, v32, v11
	v_cndmask_b32_e32 v70, v70, v21, vcc
	v_cndmask_b32_e64 v71, v71, v18, s[66:67]
	v_cmp_eq_u32_e32 vcc, 14, v22
	v_cndmask_b32_e64 v72, v72, v18, s[64:65]
	v_cndmask_b32_e64 v0, v0, v18, s[62:63]
	v_cndmask_b32_e32 v71, v71, v21, vcc
	v_cmp_eq_u32_e32 vcc, 15, v22
	v_and_b32_e32 v18, 15, v56
	v_add_u32_e32 v73, 14, v49
	v_cndmask_b32_e32 v72, v72, v21, vcc
	v_cmp_eq_u32_e32 vcc, 0, v22
	v_and_b32_e32 v73, 15, v73
	ds_bpermute_b32 v74, v44, v9
	v_cndmask_b32_e32 v0, v0, v21, vcc
	v_cmp_eq_u32_e32 vcc, 0, v18
	v_add_u32_e32 v75, 13, v49
	v_and_b32_e32 v75, 15, v75
	s_waitcnt lgkmcnt(1)
	v_cndmask_b32_e32 v0, v0, v1, vcc
	v_cmp_eq_u32_e32 vcc, 15, v18
	ds_bpermute_b32 v77, v45, v2
	v_add_u32_e32 v79, 11, v49
	v_cndmask_b32_e32 v21, v72, v1, vcc
	v_cmp_eq_u32_e32 vcc, 14, v18
	ds_bpermute_b32 v72, v43, v8
	v_and_b32_e32 v79, 15, v79
	v_cndmask_b32_e32 v22, v71, v1, vcc
	v_cmp_eq_u32_e32 vcc, 13, v18
	v_add_u32_e32 v71, -1, v49
	v_and_b32_e32 v71, 15, v71
	v_cndmask_b32_e32 v70, v70, v1, vcc
	v_cmp_eq_u32_e32 vcc, 12, v18
	v_add_u32_e32 v80, 10, v49
	v_and_b32_e32 v80, 15, v80
	v_cndmask_b32_e32 v69, v69, v1, vcc
	v_cmp_eq_u32_e32 vcc, 11, v18
	s_nop 1
	v_cndmask_b32_e32 v39, v39, v1, vcc
	v_cmp_eq_u32_e32 vcc, 10, v18
	s_nop 1
	v_cndmask_b32_e32 v38, v38, v1, vcc
	v_cmp_eq_u32_e32 vcc, 9, v18
	s_nop 1
	v_cndmask_b32_e32 v37, v37, v1, vcc
	v_cmp_eq_u32_e32 vcc, 8, v18
	s_nop 1
	v_cndmask_b32_e32 v36, v36, v1, vcc
	v_cmp_eq_u32_e32 vcc, 7, v18
	s_nop 1
	v_cndmask_b32_e32 v35, v35, v1, vcc
	v_cmp_eq_u32_e32 vcc, 6, v18
	s_nop 1
	v_cndmask_b32_e32 v34, v34, v1, vcc
	v_cmp_eq_u32_e32 vcc, 5, v18
	s_nop 1
	v_cndmask_b32_e32 v33, v33, v1, vcc
	v_cmp_eq_u32_e32 vcc, 4, v18
	s_nop 1
	v_cndmask_b32_e32 v30, v30, v1, vcc
	v_cmp_eq_u32_e32 vcc, 3, v18
	s_nop 1
	v_cndmask_b32_e32 v29, v29, v1, vcc
	v_cmp_eq_u32_e32 vcc, 2, v18
	s_nop 1
	v_cndmask_b32_e32 v26, v26, v1, vcc
	v_cmp_eq_u32_e32 vcc, 1, v18
	ds_bpermute_b32 v18, v40, v12
	s_nop 0
	v_cndmask_b32_e32 v1, v25, v1, vcc
	v_and_b32_e32 v25, 15, v51
	v_cmp_eq_u32_e32 vcc, 1, v25
	s_waitcnt lgkmcnt(0)
	s_nop 0
	v_cndmask_b32_e32 v1, v1, v18, vcc
	v_cmp_eq_u32_e32 vcc, 2, v25
	s_nop 1
	v_cndmask_b32_e32 v26, v26, v18, vcc
	v_cmp_eq_u32_e32 vcc, 3, v25
	;; [unrolled: 3-line block ×15, first 2 shown]
	v_and_b32_e32 v25, 15, v50
	s_nop 0
	v_cndmask_b32_e32 v0, v0, v18, vcc
	ds_bpermute_b32 v18, v41, v13
	v_cmp_eq_u32_e32 vcc, 0, v25
	s_waitcnt lgkmcnt(0)
	s_nop 0
	v_cndmask_b32_e32 v0, v0, v18, vcc
	v_cmp_eq_u32_e32 vcc, 15, v25
	s_nop 1
	v_cndmask_b32_e32 v21, v21, v18, vcc
	v_cmp_eq_u32_e32 vcc, 14, v25
	;; [unrolled: 3-line block ×15, first 2 shown]
	s_nop 1
	v_cndmask_b32_e32 v1, v1, v18, vcc
	ds_bpermute_b32 v18, v23, v6
	v_cmp_eq_u32_e32 vcc, 1, v49
	s_waitcnt lgkmcnt(0)
	s_nop 0
	v_cndmask_b32_e32 v1, v1, v18, vcc
	v_cmp_eq_u32_e32 vcc, 3, v49
	s_nop 1
	v_cndmask_b32_e32 v25, v29, v18, vcc
	v_cmp_eq_u32_e32 vcc, 4, v49
	;; [unrolled: 3-line block ×11, first 2 shown]
	s_nop 1
	v_cndmask_b32_e32 v69, v70, v18, vcc
	ds_bpermute_b32 v70, v42, v7
	v_cmp_eq_u32_e32 vcc, 14, v49
	s_nop 1
	v_cndmask_b32_e32 v22, v22, v18, vcc
	v_cmp_eq_u32_e32 vcc, 15, v49
	s_nop 1
	v_cndmask_b32_e32 v21, v21, v18, vcc
	;; [unrolled: 3-line block ×3, first 2 shown]
	v_cmp_eq_u32_e32 vcc, 0, v71
	s_waitcnt lgkmcnt(0)
	s_nop 0
	v_cndmask_b32_e32 v0, v0, v70, vcc
	v_cmp_eq_u32_e32 vcc, 15, v71
	s_nop 1
	v_cndmask_b32_e32 v21, v21, v70, vcc
	v_cmp_eq_u32_e32 vcc, 14, v71
	;; [unrolled: 3-line block ×33, first 2 shown]
	v_add_u32_e32 v22, 12, v49
	v_and_b32_e32 v78, 15, v22
	v_cndmask_b32_e32 v69, v69, v74, vcc
	v_cmp_eq_u32_e32 vcc, 12, v75
	s_nop 1
	v_cndmask_b32_e32 v39, v39, v74, vcc
	v_cmp_eq_u32_e32 vcc, 11, v75
	s_nop 1
	;; [unrolled: 3-line block ×13, first 2 shown]
	v_cndmask_b32_e32 v22, v76, v77, vcc
	ds_bpermute_b32 v76, v46, v3
	v_cmp_eq_u32_e32 vcc, 0, v79
	s_waitcnt lgkmcnt(0)
	s_nop 0
	v_cndmask_b32_e32 v22, v22, v76, vcc
	v_cmp_eq_u32_e32 vcc, 1, v79
	s_nop 1
	v_cndmask_b32_e32 v1, v1, v76, vcc
	v_cmp_eq_u32_e32 vcc, 2, v49
	s_nop 1
	v_cndmask_b32_e32 v18, v26, v18, vcc
	ds_bpermute_b32 v26, v47, v4
	v_cmp_eq_u32_e32 vcc, 1, v80
	s_waitcnt lgkmcnt(0)
	s_nop 0
	v_cndmask_b32_e32 v1, v1, v26, vcc
	v_cmp_eq_u32_e32 vcc, 0, v80
	s_nop 1
	v_cndmask_b32_e32 v22, v22, v26, vcc
	v_cmp_eq_u32_e32 vcc, 2, v71
	v_add_u32_e32 v71, 9, v49
	v_and_b32_e32 v71, 15, v71
	v_cndmask_b32_e32 v18, v18, v70, vcc
	ds_bpermute_b32 v70, v48, v5
	v_cmp_eq_u32_e32 vcc, 0, v71
	s_waitcnt lgkmcnt(0)
	s_nop 0
	v_cndmask_b32_e32 v81, v22, v70, vcc
	v_cmp_eq_u32_e32 vcc, 1, v71
	v_and_b32_e32 v22, 3, v20
	s_nop 0
	v_cndmask_b32_e32 v1, v1, v70, vcc
	v_cmp_eq_u32_e32 vcc, 2, v73
	v_or_b32_e32 v73, 4, v22
	s_nop 0
	v_cndmask_b32_e32 v18, v18, v72, vcc
	ds_bpermute_b32 v72, v48, v1
	v_cmp_eq_u32_e32 vcc, 0, v73
	s_waitcnt lgkmcnt(0)
	s_nop 0
	v_cndmask_b32_e32 v82, v81, v72, vcc
	v_cmp_eq_u32_e32 vcc, 2, v75
	s_nop 1
	v_cndmask_b32_e32 v1, v18, v74, vcc
	v_cmp_eq_u32_e32 vcc, 2, v78
	;; [unrolled: 3-line block ×51, first 2 shown]
	ds_bpermute_b32 v0, v24, v0
	s_nop 0
	v_cndmask_b32_e32 v1, v1, v70, vcc
	v_cmp_eq_u32_e32 vcc, 13, v71
	ds_bpermute_b32 v1, v27, v1
	s_waitcnt lgkmcnt(1)
	v_mov_b32_dpp v0, v0 quad_perm:[1,2,3,0] row_mask:0xf bank_mask:0xf
	v_cndmask_b32_e32 v18, v18, v70, vcc
	v_cmp_eq_u32_e32 vcc, 12, v71
	ds_bpermute_b32 v18, v28, v18
	s_waitcnt lgkmcnt(1)
	v_mov_b32_dpp v1, v1 quad_perm:[1,2,3,0] row_mask:0xf bank_mask:0xf
	v_cndmask_b32_e32 v21, v36, v70, vcc
	v_cmp_eq_u32_e32 vcc, 11, v71
	ds_bpermute_b32 v21, v31, v21
	s_nop 0
	v_cndmask_b32_e32 v25, v25, v70, vcc
	v_cmp_eq_u32_e32 vcc, 10, v71
	ds_bpermute_b32 v25, v32, v25
	s_waitcnt lgkmcnt(1)
	v_mov_b32_dpp v21, v21 quad_perm:[1,2,3,0] row_mask:0xf bank_mask:0xf
	v_cndmask_b32_e32 v26, v35, v70, vcc
	v_cmp_eq_u32_e32 vcc, 9, v71
	ds_bpermute_b32 v26, v40, v26
	s_waitcnt lgkmcnt(1)
	v_mov_b32_dpp v25, v25 quad_perm:[2,3,0,1] row_mask:0xf bank_mask:0xf
	;; [unrolled: 5-line block ×9, first 2 shown]
	v_cndmask_b32_e32 v78, v81, v72, vcc
	v_cmp_eq_u32_e32 vcc, 10, v73
	s_nop 1
	v_cndmask_b32_e32 v79, v81, v72, vcc
	v_cmp_eq_u32_e32 vcc, 2, v71
	s_nop 1
	v_cndmask_b32_e32 v70, v76, v70, vcc
	v_cmp_eq_u32_e32 vcc, 9, v73
	ds_bpermute_b32 v70, v47, v70
	s_nop 0
	v_cndmask_b32_e32 v71, v81, v72, vcc
	v_cmp_eq_u32_e32 vcc, 7, v73
	s_nop 1
	v_cndmask_b32_e32 v76, v81, v72, vcc
	v_cmp_eq_u32_e32 vcc, 6, v73
	;; [unrolled: 3-line block ×6, first 2 shown]
	v_or_b32_e32 v73, 8, v22
	s_nop 0
	v_cndmask_b32_e32 v72, v81, v72, vcc
	v_cmp_eq_u32_e32 vcc, 1, v73
	s_waitcnt lgkmcnt(0)
	s_nop 0
	v_cndmask_b32_e32 v72, v72, v70, vcc
	v_cmp_eq_u32_e32 vcc, 2, v73
	s_nop 1
	v_cndmask_b32_e32 v81, v85, v70, vcc
	v_cmp_eq_u32_e32 vcc, 3, v73
	;; [unrolled: 3-line block ×15, first 2 shown]
	v_or_b32_e32 v73, 12, v22
	v_xor_b32_e32 v22, 2, v22
	v_cndmask_b32_e32 v70, v82, v70, vcc
	v_cmp_eq_u32_e32 vcc, 0, v73
	s_nop 1
	v_cndmask_b32_e32 v70, v70, v39, vcc
	v_cmp_eq_u32_e32 vcc, 4, v73
	s_nop 1
	;; [unrolled: 3-line block ×16, first 2 shown]
	v_cndmask_b32_e32 v39, v72, v39, vcc
	v_add_u32_e32 v72, -1, v20
	v_and_b32_e32 v72, 3, v72
	v_cmp_eq_u32_e32 vcc, 1, v72
	s_nop 1
	v_cndmask_b32_e32 v39, v39, v36, vcc
	v_cmp_eq_u32_e32 vcc, 2, v72
	s_nop 1
	v_cndmask_b32_e32 v73, v81, v36, vcc
	v_cmp_eq_u32_e32 vcc, 3, v72
	s_nop 1
	v_cndmask_b32_e32 v81, v83, v36, vcc
	v_cmp_eq_u32_e32 vcc, 5, v72
	s_nop 1
	v_cndmask_b32_e32 v82, v82, v36, vcc
	v_cmp_eq_u32_e32 vcc, 6, v72
	s_nop 1
	v_cndmask_b32_e32 v80, v80, v36, vcc
	v_cmp_eq_u32_e32 vcc, 7, v72
	s_nop 1
	v_cndmask_b32_e32 v76, v76, v36, vcc
	v_cmp_eq_u32_e32 vcc, 9, v72
	s_nop 1
	v_cndmask_b32_e32 v71, v71, v36, vcc
	v_cmp_eq_u32_e32 vcc, 10, v72
	s_nop 1
	v_cndmask_b32_e32 v79, v79, v36, vcc
	v_cmp_eq_u32_e32 vcc, 11, v72
	s_nop 1
	v_cndmask_b32_e32 v78, v78, v36, vcc
	v_cmp_eq_u32_e32 vcc, 13, v72
	s_nop 1
	v_cndmask_b32_e32 v38, v38, v36, vcc
	v_cmp_eq_u32_e32 vcc, 14, v72
	s_nop 1
	v_cndmask_b32_e32 v37, v37, v36, vcc
	v_cmp_eq_u32_e32 vcc, 15, v72
	s_nop 1
	v_cndmask_b32_e32 v77, v77, v36, vcc
	v_cmp_eq_u32_e32 vcc, 12, v72
	s_nop 1
	v_cndmask_b32_e32 v75, v75, v36, vcc
	v_cmp_eq_u32_e32 vcc, 8, v72
	s_nop 1
	v_cndmask_b32_e32 v74, v74, v36, vcc
	v_cmp_eq_u32_e32 vcc, 4, v72
	s_nop 1
	v_cndmask_b32_e32 v69, v69, v36, vcc
	v_cmp_eq_u32_e32 vcc, 0, v72
	s_nop 1
	v_cndmask_b32_e32 v36, v70, v36, vcc
	v_or_b32_e32 v70, 4, v72
	v_cmp_eq_u32_e32 vcc, 0, v70
	s_nop 1
	v_cndmask_b32_e32 v36, v36, v35, vcc
	v_cmp_eq_u32_e32 vcc, 4, v70
	s_nop 1
	v_cndmask_b32_e32 v69, v69, v35, vcc
	v_cmp_eq_u32_e32 vcc, 8, v70
	s_nop 1
	v_cndmask_b32_e32 v74, v74, v35, vcc
	v_cmp_eq_u32_e32 vcc, 12, v70
	s_nop 1
	v_cndmask_b32_e32 v75, v75, v35, vcc
	v_cmp_eq_u32_e32 vcc, 15, v70
	s_nop 1
	v_cndmask_b32_e32 v77, v77, v35, vcc
	v_cmp_eq_u32_e32 vcc, 14, v70
	s_nop 1
	v_cndmask_b32_e32 v37, v37, v35, vcc
	v_cmp_eq_u32_e32 vcc, 13, v70
	s_nop 1
	v_cndmask_b32_e32 v38, v38, v35, vcc
	v_cmp_eq_u32_e32 vcc, 11, v70
	s_nop 1
	v_cndmask_b32_e32 v78, v78, v35, vcc
	v_cmp_eq_u32_e32 vcc, 10, v70
	s_nop 1
	v_cndmask_b32_e32 v79, v79, v35, vcc
	v_cmp_eq_u32_e32 vcc, 9, v70
	s_nop 1
	v_cndmask_b32_e32 v71, v71, v35, vcc
	v_cmp_eq_u32_e32 vcc, 7, v70
	s_nop 1
	v_cndmask_b32_e32 v76, v76, v35, vcc
	v_cmp_eq_u32_e32 vcc, 6, v70
	s_nop 1
	v_cndmask_b32_e32 v80, v80, v35, vcc
	v_cmp_eq_u32_e32 vcc, 5, v70
	s_nop 1
	v_cndmask_b32_e32 v82, v82, v35, vcc
	v_cmp_eq_u32_e32 vcc, 3, v70
	s_nop 1
	v_cndmask_b32_e32 v81, v81, v35, vcc
	v_cmp_eq_u32_e32 vcc, 2, v70
	s_nop 1
	v_cndmask_b32_e32 v73, v73, v35, vcc
	v_cmp_eq_u32_e32 vcc, 1, v70
	s_nop 1
	v_cndmask_b32_e32 v35, v39, v35, vcc
	v_or_b32_e32 v39, 8, v72
	;; [unrolled: 49-line block ×3, first 2 shown]
	v_cmp_eq_u32_e32 vcc, 0, v36
	s_nop 1
	v_cndmask_b32_e32 v30, v30, v33, vcc
	v_cmp_eq_u32_e32 vcc, 8, v36
	s_nop 1
	v_cndmask_b32_e32 v39, v74, v33, vcc
	v_cmp_eq_u32_e32 vcc, 12, v36
	s_nop 1
	v_cndmask_b32_e32 v72, v75, v33, vcc
	v_cmp_eq_u32_e32 vcc, 15, v36
	s_nop 1
	v_cndmask_b32_e32 v74, v77, v33, vcc
	v_cmp_eq_u32_e32 vcc, 14, v36
	s_nop 1
	v_cndmask_b32_e32 v37, v37, v33, vcc
	v_cmp_eq_u32_e32 vcc, 13, v36
	s_nop 1
	v_cndmask_b32_e32 v38, v38, v33, vcc
	v_cmp_eq_u32_e32 vcc, 11, v36
	s_nop 1
	v_cndmask_b32_e32 v75, v78, v33, vcc
	v_cmp_eq_u32_e32 vcc, 10, v36
	s_nop 1
	v_cndmask_b32_e32 v77, v79, v33, vcc
	v_cmp_eq_u32_e32 vcc, 9, v36
	s_nop 1
	v_cndmask_b32_e32 v71, v71, v33, vcc
	v_cmp_eq_u32_e32 vcc, 7, v36
	s_nop 1
	v_cndmask_b32_e32 v76, v76, v33, vcc
	v_cmp_eq_u32_e32 vcc, 6, v36
	s_nop 1
	v_cndmask_b32_e32 v78, v80, v33, vcc
	v_cmp_eq_u32_e32 vcc, 5, v36
	v_or_b32_e32 v80, 4, v22
	s_nop 0
	v_cndmask_b32_e32 v79, v81, v33, vcc
	v_cmp_eq_u32_e32 vcc, 3, v36
	s_nop 1
	v_cndmask_b32_e32 v73, v73, v33, vcc
	v_cmp_eq_u32_e32 vcc, 2, v36
	s_nop 1
	v_cndmask_b32_e32 v70, v70, v33, vcc
	v_cmp_eq_u32_e32 vcc, 1, v36
	s_nop 1
	v_cndmask_b32_e32 v35, v35, v33, vcc
	v_cmp_eq_u32_e32 vcc, 1, v22
	s_nop 1
	v_cndmask_b32_e32 v35, v35, v34, vcc
	v_cmp_eq_u32_e32 vcc, 2, v22
	s_nop 1
	v_cndmask_b32_e32 v70, v70, v34, vcc
	v_cmp_eq_u32_e32 vcc, 3, v22
	s_nop 1
	v_cndmask_b32_e32 v73, v73, v34, vcc
	v_cmp_eq_u32_e32 vcc, 5, v22
	s_nop 1
	v_cndmask_b32_e32 v79, v79, v34, vcc
	v_cmp_eq_u32_e32 vcc, 6, v22
	s_nop 1
	v_cndmask_b32_e32 v78, v78, v34, vcc
	v_cmp_eq_u32_e32 vcc, 7, v22
	s_nop 1
	v_cndmask_b32_e32 v76, v76, v34, vcc
	v_cmp_eq_u32_e32 vcc, 9, v22
	s_nop 1
	v_cndmask_b32_e32 v71, v71, v34, vcc
	v_cmp_eq_u32_e32 vcc, 10, v22
	s_nop 1
	v_cndmask_b32_e32 v77, v77, v34, vcc
	v_cmp_eq_u32_e32 vcc, 11, v22
	s_nop 1
	v_cndmask_b32_e32 v75, v75, v34, vcc
	v_cmp_eq_u32_e32 vcc, 13, v22
	s_nop 1
	v_cndmask_b32_e32 v38, v38, v34, vcc
	v_cmp_eq_u32_e32 vcc, 14, v22
	s_nop 1
	v_cndmask_b32_e32 v37, v37, v34, vcc
	v_cmp_eq_u32_e32 vcc, 15, v22
	s_nop 1
	v_cndmask_b32_e32 v74, v74, v34, vcc
	v_cmp_eq_u32_e32 vcc, 12, v22
	s_nop 1
	v_cndmask_b32_e32 v72, v72, v34, vcc
	v_cmp_eq_u32_e32 vcc, 8, v22
	s_nop 1
	v_cndmask_b32_e32 v39, v39, v34, vcc
	v_cmp_eq_u32_e32 vcc, 0, v22
	s_nop 1
	v_cndmask_b32_e32 v30, v30, v34, vcc
	v_cmp_eq_u32_e32 vcc, 0, v80
	s_nop 1
	v_cndmask_b32_e32 v30, v30, v29, vcc
	v_cmp_eq_u32_e32 vcc, 8, v80
	s_nop 1
	v_cndmask_b32_e32 v39, v39, v29, vcc
	v_cmp_eq_u32_e32 vcc, 12, v80
	s_nop 1
	v_cndmask_b32_e32 v72, v72, v29, vcc
	v_cmp_eq_u32_e32 vcc, 15, v80
	s_nop 1
	v_cndmask_b32_e32 v74, v74, v29, vcc
	v_cmp_eq_u32_e32 vcc, 14, v80
	s_nop 1
	v_cndmask_b32_e32 v37, v37, v29, vcc
	v_cmp_eq_u32_e32 vcc, 13, v80
	s_nop 1
	v_cndmask_b32_e32 v38, v38, v29, vcc
	v_cmp_eq_u32_e32 vcc, 11, v80
	s_nop 1
	v_cndmask_b32_e32 v75, v75, v29, vcc
	v_cmp_eq_u32_e32 vcc, 10, v80
	s_nop 1
	v_cndmask_b32_e32 v77, v77, v29, vcc
	v_cmp_eq_u32_e32 vcc, 9, v80
	s_nop 1
	v_cndmask_b32_e32 v71, v71, v29, vcc
	v_cmp_eq_u32_e32 vcc, 7, v80
	s_nop 1
	v_cndmask_b32_e32 v76, v76, v29, vcc
	v_cmp_eq_u32_e32 vcc, 6, v80
	s_nop 1
	v_cndmask_b32_e32 v78, v78, v29, vcc
	v_cmp_eq_u32_e32 vcc, 5, v80
	s_nop 1
	v_cndmask_b32_e32 v79, v79, v29, vcc
	v_cmp_eq_u32_e32 vcc, 3, v80
	s_nop 1
	v_cndmask_b32_e32 v73, v73, v29, vcc
	v_cmp_eq_u32_e32 vcc, 2, v80
	s_nop 1
	v_cndmask_b32_e32 v70, v70, v29, vcc
	v_cmp_eq_u32_e32 vcc, 1, v80
	s_nop 1
	v_cndmask_b32_e32 v35, v35, v29, vcc
	v_cmp_eq_u32_e32 vcc, 4, v36
	v_or_b32_e32 v36, 8, v22
	s_nop 0
	v_cndmask_b32_e32 v33, v69, v33, vcc
	v_cmp_eq_u32_e32 vcc, 1, v36
	s_nop 1
	v_cndmask_b32_e32 v35, v35, v26, vcc
	v_cmp_eq_u32_e32 vcc, 2, v36
	;; [unrolled: 3-line block ×16, first 2 shown]
	s_nop 1
	v_cndmask_b32_e32 v33, v33, v34, vcc
	v_or_b32_e32 v34, 12, v22
	v_add_u32_e32 v22, 3, v22
	v_cmp_eq_u32_e32 vcc, 0, v34
	v_and_b32_e32 v79, 3, v22
	v_or_b32_e32 v81, 12, v22
	v_cndmask_b32_e32 v30, v30, v25, vcc
	v_cmp_eq_u32_e32 vcc, 0, v79
	s_nop 1
	v_cndmask_b32_e32 v30, v30, v21, vcc
	v_cmp_eq_u32_e32 vcc, 4, v80
	v_or_b32_e32 v80, 4, v22
	s_nop 0
	v_cndmask_b32_e32 v29, v33, v29, vcc
	v_mov_b32_dpp v33, v18 quad_perm:[1,2,3,0] row_mask:0xf bank_mask:0xf
	v_cmp_eq_u32_e32 vcc, 0, v80
	s_nop 1
	v_cndmask_b32_e32 v18, v30, v33, vcc
	v_or_b32_e32 v30, 8, v79
	v_cmp_eq_u32_e32 vcc, 0, v30
	s_nop 1
	v_cndmask_b32_e32 v18, v18, v1, vcc
	v_cmp_eq_u32_e32 vcc, 0, v81
	s_nop 1
	v_cndmask_b32_e32 v18, v18, v0, vcc
	;; [unrolled: 3-line block ×69, first 2 shown]
	v_cmp_eq_u32_e32 vcc, 10, v81
	s_nop 0
	v_mov_b32_dpp v29, v29 quad_perm:[3,0,1,2] row_mask:0xf bank_mask:0xf
	v_cndmask_b32_e32 v71, v71, v0, vcc
	v_cmp_eq_u32_e32 vcc, 9, v81
	s_nop 1
	v_cndmask_b32_e32 v70, v70, v0, vcc
	v_cmp_eq_u32_e32 vcc, 7, v81
	s_nop 1
	v_cndmask_b32_e32 v69, v69, v0, vcc
	v_cmp_eq_u32_e32 vcc, 6, v81
	s_nop 1
	v_cndmask_b32_e32 v35, v35, v0, vcc
	v_cmp_eq_u32_e32 vcc, 5, v81
	s_nop 0
	v_mov_b32_dpp v37, v35 quad_perm:[2,3,0,1] row_mask:0xf bank_mask:0xf
	v_cndmask_b32_e32 v34, v34, v0, vcc
	v_cmp_eq_u32_e32 vcc, 3, v81
	v_mov_b32_dpp v35, v71 quad_perm:[2,3,0,1] row_mask:0xf bank_mask:0xf
	v_mov_b32_dpp v36, v34 quad_perm:[1,2,3,0] row_mask:0xf bank_mask:0xf
	v_cndmask_b32_e32 v33, v33, v0, vcc
	v_cmp_eq_u32_e32 vcc, 2, v81
	v_mov_b32_dpp v34, v70 quad_perm:[1,2,3,0] row_mask:0xf bank_mask:0xf
	s_nop 0
	v_cndmask_b32_e32 v25, v25, v0, vcc
	v_cmp_eq_u32_e32 vcc, 12, v81
	s_nop 0
	v_mov_b32_dpp v39, v25 quad_perm:[2,3,0,1] row_mask:0xf bank_mask:0xf
	v_cndmask_b32_e32 v30, v1, v0, vcc
	v_cmp_eq_u32_e32 vcc, 1, v81
	v_mov_b32_dpp v25, v69 quad_perm:[3,0,1,2] row_mask:0xf bank_mask:0xf
	v_mov_b32_dpp v1, v73 quad_perm:[2,3,0,1] row_mask:0xf bank_mask:0xf
	v_cndmask_b32_e32 v0, v21, v0, vcc
	v_mov_b32_dpp v21, v33 quad_perm:[3,0,1,2] row_mask:0xf bank_mask:0xf
	v_mov_b32_dpp v33, v72 quad_perm:[3,0,1,2] row_mask:0xf bank_mask:0xf
	;; [unrolled: 1-line block ×4, first 2 shown]
	s_cbranch_execz .LBB5_3
	s_branch .LBB5_4
.LBB5_2:
                                        ; implicit-def: $vgpr33
                                        ; implicit-def: $vgpr29
                                        ; implicit-def: $vgpr25
                                        ; implicit-def: $vgpr21
                                        ; implicit-def: $vgpr0_vgpr1
                                        ; implicit-def: $vgpr34_vgpr35
                                        ; implicit-def: $vgpr36_vgpr37
                                        ; implicit-def: $vgpr38_vgpr39
.LBB5_3:
	ds_bpermute_b32 v15, v24, v15
	ds_bpermute_b32 v16, v27, v16
	;; [unrolled: 1-line block ×5, first 2 shown]
	s_waitcnt lgkmcnt(4)
	v_cndmask_b32_e64 v14, v14, v15, s[72:73]
	v_cndmask_b32_e64 v18, v63, v15, s[70:71]
	ds_bpermute_b32 v22, v42, v7
	ds_bpermute_b32 v7, v44, v9
	ds_bpermute_b32 v6, v45, v2
	ds_bpermute_b32 v2, v46, v3
	ds_bpermute_b32 v1, v47, v4
	ds_bpermute_b32 v0, v48, v5
	v_cndmask_b32_e64 v3, v52, v15, s[0:1]
	v_cndmask_b32_e64 v4, v53, v15, s[2:3]
	;; [unrolled: 1-line block ×14, first 2 shown]
	s_waitcnt lgkmcnt(9)
	v_cndmask_b32_e64 v15, v15, v16, s[28:29]
	v_cndmask_b32_e64 v37, v37, v16, s[30:31]
	;; [unrolled: 1-line block ×16, first 2 shown]
	s_waitcnt lgkmcnt(8)
	v_cndmask_b32_e64 v14, v14, v17, s[62:63]
	v_cndmask_b32_e64 v16, v18, v17, s[64:65]
	v_cndmask_b32_e64 v3, v3, v17, s[66:67]
	v_cndmask_b32_e64 v4, v4, v17, s[68:69]
	v_cndmask_b32_e64 v5, v5, v17, s[74:75]
	v_cndmask_b32_e64 v9, v9, v17, s[76:77]
	v_cndmask_b32_e64 v18, v25, v17, s[78:79]
	v_cndmask_b32_e64 v25, v26, v17, s[80:81]
	v_cndmask_b32_e64 v26, v29, v17, s[82:83]
	v_cndmask_b32_e64 v29, v30, v17, s[84:85]
	v_cndmask_b32_e64 v30, v33, v17, s[86:87]
	v_cndmask_b32_e64 v33, v34, v17, s[88:89]
	v_cndmask_b32_e64 v34, v35, v17, s[90:91]
	v_cndmask_b32_e64 v35, v36, v17, s[92:93]
	v_cndmask_b32_e64 v36, v37, v17, s[94:95]
	v_cndmask_b32_e64 v15, v15, v17, s[96:97]
	v_and_b32_e32 v17, 15, v68
	v_cmp_eq_u32_e32 vcc, 1, v17
	ds_bpermute_b32 v11, v32, v11
	ds_bpermute_b32 v12, v40, v12
	s_waitcnt lgkmcnt(9)
	v_cndmask_b32_e32 v15, v15, v10, vcc
	v_cmp_eq_u32_e32 vcc, 2, v17
	ds_bpermute_b32 v13, v41, v13
	ds_bpermute_b32 v8, v43, v8
	v_cndmask_b32_e32 v36, v36, v10, vcc
	v_cmp_eq_u32_e32 vcc, 3, v17
	s_nop 1
	v_cndmask_b32_e32 v35, v35, v10, vcc
	v_cmp_eq_u32_e32 vcc, 4, v17
	s_nop 1
	;; [unrolled: 3-line block ×14, first 2 shown]
	v_cndmask_b32_e32 v10, v14, v10, vcc
	v_and_b32_e32 v14, 15, v56
	v_cmp_eq_u32_e32 vcc, 0, v14
	s_waitcnt lgkmcnt(3)
	s_nop 0
	v_cndmask_b32_e32 v10, v10, v11, vcc
	v_cmp_eq_u32_e32 vcc, 15, v14
	s_nop 1
	v_cndmask_b32_e32 v16, v16, v11, vcc
	v_cmp_eq_u32_e32 vcc, 14, v14
	;; [unrolled: 3-line block ×15, first 2 shown]
	v_and_b32_e32 v14, 15, v51
	s_nop 0
	v_cndmask_b32_e32 v11, v15, v11, vcc
	v_cmp_eq_u32_e32 vcc, 1, v14
	s_waitcnt lgkmcnt(2)
	s_nop 0
	v_cndmask_b32_e32 v11, v11, v12, vcc
	v_cmp_eq_u32_e32 vcc, 2, v14
	s_nop 1
	v_cndmask_b32_e32 v15, v35, v12, vcc
	v_cmp_eq_u32_e32 vcc, 3, v14
	s_nop 1
	v_cndmask_b32_e32 v34, v34, v12, vcc
	v_cmp_eq_u32_e32 vcc, 4, v14
	s_nop 1
	v_cndmask_b32_e32 v33, v33, v12, vcc
	v_cmp_eq_u32_e32 vcc, 5, v14
	s_nop 1
	v_cndmask_b32_e32 v30, v30, v12, vcc
	v_cmp_eq_u32_e32 vcc, 6, v14
	s_nop 1
	v_cndmask_b32_e32 v29, v29, v12, vcc
	v_cmp_eq_u32_e32 vcc, 7, v14
	s_nop 1
	v_cndmask_b32_e32 v26, v26, v12, vcc
	v_cmp_eq_u32_e32 vcc, 8, v14
	s_nop 1
	v_cndmask_b32_e32 v25, v25, v12, vcc
	v_cmp_eq_u32_e32 vcc, 9, v14
	s_nop 1
	v_cndmask_b32_e32 v18, v18, v12, vcc
	v_cmp_eq_u32_e32 vcc, 10, v14
	s_nop 1
	v_cndmask_b32_e32 v17, v17, v12, vcc
	v_cmp_eq_u32_e32 vcc, 11, v14
	s_nop 1
	v_cndmask_b32_e32 v9, v9, v12, vcc
	v_cmp_eq_u32_e32 vcc, 12, v14
	s_nop 1
	v_cndmask_b32_e32 v5, v5, v12, vcc
	v_cmp_eq_u32_e32 vcc, 13, v14
	s_nop 1
	v_cndmask_b32_e32 v4, v4, v12, vcc
	v_cmp_eq_u32_e32 vcc, 14, v14
	s_nop 1
	v_cndmask_b32_e32 v3, v3, v12, vcc
	v_cmp_eq_u32_e32 vcc, 15, v14
	s_nop 1
	v_cndmask_b32_e32 v16, v16, v12, vcc
	v_cmp_eq_u32_e32 vcc, 0, v14
	s_nop 1
	v_cndmask_b32_e32 v10, v10, v12, vcc
	v_and_b32_e32 v12, 15, v50
	v_cmp_eq_u32_e32 vcc, 0, v12
	s_waitcnt lgkmcnt(1)
	s_nop 0
	v_cndmask_b32_e32 v10, v10, v13, vcc
	v_cmp_eq_u32_e32 vcc, 15, v12
	s_nop 1
	v_cndmask_b32_e32 v14, v16, v13, vcc
	v_cmp_eq_u32_e32 vcc, 14, v12
	;; [unrolled: 3-line block ×31, first 2 shown]
	s_nop 1
	v_cndmask_b32_e32 v10, v10, v21, vcc
	v_add_u32_e32 v21, -1, v49
	v_and_b32_e32 v21, 15, v21
	v_cmp_eq_u32_e32 vcc, 0, v21
	s_nop 1
	v_cndmask_b32_e32 v10, v10, v22, vcc
	v_cmp_eq_u32_e32 vcc, 15, v21
	s_nop 1
	v_cndmask_b32_e32 v14, v14, v22, vcc
	;; [unrolled: 3-line block ×15, first 2 shown]
	v_cmp_eq_u32_e32 vcc, 1, v21
	v_add_u32_e32 v21, 14, v49
	v_and_b32_e32 v21, 15, v21
	v_cndmask_b32_e32 v11, v11, v22, vcc
	v_cmp_eq_u32_e32 vcc, 1, v21
	s_waitcnt lgkmcnt(0)
	s_nop 0
	v_cndmask_b32_e32 v11, v11, v8, vcc
	v_cmp_eq_u32_e32 vcc, 2, v21
	s_nop 1
	v_cndmask_b32_e32 v12, v12, v8, vcc
	v_cmp_eq_u32_e32 vcc, 3, v21
	;; [unrolled: 3-line block ×15, first 2 shown]
	s_nop 1
	v_cndmask_b32_e32 v8, v10, v8, vcc
	v_add_u32_e32 v10, 13, v49
	v_and_b32_e32 v10, 15, v10
	v_cmp_eq_u32_e32 vcc, 0, v10
	s_nop 1
	v_cndmask_b32_e32 v8, v8, v7, vcc
	v_cmp_eq_u32_e32 vcc, 15, v10
	s_nop 1
	v_cndmask_b32_e32 v14, v14, v7, vcc
	;; [unrolled: 3-line block ×15, first 2 shown]
	v_cmp_eq_u32_e32 vcc, 1, v10
	v_add_u32_e32 v10, 12, v49
	v_and_b32_e32 v10, 15, v10
	v_cndmask_b32_e32 v7, v11, v7, vcc
	v_cmp_eq_u32_e32 vcc, 1, v10
	s_nop 1
	v_cndmask_b32_e32 v7, v7, v6, vcc
	v_cmp_eq_u32_e32 vcc, 2, v10
	s_nop 1
	;; [unrolled: 3-line block ×16, first 2 shown]
	v_cndmask_b32_e32 v6, v8, v6, vcc
	v_add_u32_e32 v8, 11, v49
	v_and_b32_e32 v8, 15, v8
	v_cmp_eq_u32_e32 vcc, 0, v8
	s_nop 1
	v_cndmask_b32_e32 v6, v6, v2, vcc
	v_cmp_eq_u32_e32 vcc, 15, v8
	s_nop 1
	v_cndmask_b32_e32 v10, v14, v2, vcc
	;; [unrolled: 3-line block ×16, first 2 shown]
	v_add_u32_e32 v7, 10, v49
	v_and_b32_e32 v7, 15, v7
	v_cmp_eq_u32_e32 vcc, 1, v7
	s_nop 1
	v_cndmask_b32_e32 v2, v2, v1, vcc
	v_cmp_eq_u32_e32 vcc, 2, v7
	s_nop 1
	v_cndmask_b32_e32 v8, v11, v1, vcc
	;; [unrolled: 3-line block ×16, first 2 shown]
	v_add_u32_e32 v6, 9, v49
	v_and_b32_e32 v6, 15, v6
	v_cmp_eq_u32_e32 vcc, 0, v6
	s_nop 1
	v_cndmask_b32_e32 v21, v1, v0, vcc
	v_cmp_eq_u32_e32 vcc, 15, v6
	s_nop 1
	v_cndmask_b32_e32 v1, v10, v0, vcc
	v_cmp_eq_u32_e32 vcc, 14, v6
	ds_bpermute_b32 v22, v24, v1
	s_nop 0
	v_cndmask_b32_e32 v3, v3, v0, vcc
	v_cmp_eq_u32_e32 vcc, 13, v6
	s_nop 1
	v_cndmask_b32_e32 v4, v4, v0, vcc
	v_cmp_eq_u32_e32 vcc, 12, v6
	;; [unrolled: 3-line block ×5, first 2 shown]
	ds_bpermute_b32 v9, v40, v9
	s_nop 0
	v_cndmask_b32_e32 v10, v16, v0, vcc
	v_cmp_eq_u32_e32 vcc, 8, v6
	ds_bpermute_b32 v10, v41, v10
	s_nop 0
	v_cndmask_b32_e32 v14, v17, v0, vcc
	v_cmp_eq_u32_e32 vcc, 7, v6
	s_nop 1
	v_cndmask_b32_e32 v16, v18, v0, vcc
	v_cmp_eq_u32_e32 vcc, 6, v6
	ds_bpermute_b32 v18, v27, v3
	s_nop 0
	v_cndmask_b32_e32 v15, v15, v0, vcc
	v_cmp_eq_u32_e32 vcc, 5, v6
	s_waitcnt lgkmcnt(0)
	v_mov_b32_dpp v1, v18 quad_perm:[1,2,3,0] row_mask:0xf bank_mask:0xf
	v_cndmask_b32_e32 v13, v13, v0, vcc
	v_cmp_eq_u32_e32 vcc, 4, v6
	s_nop 1
	v_cndmask_b32_e32 v12, v12, v0, vcc
	v_cmp_eq_u32_e32 vcc, 3, v6
	s_nop 1
	v_cndmask_b32_e32 v11, v11, v0, vcc
	v_cmp_eq_u32_e32 vcc, 2, v6
	ds_bpermute_b32 v11, v46, v11
	s_nop 0
	v_cndmask_b32_e32 v8, v8, v0, vcc
	v_cmp_eq_u32_e32 vcc, 1, v6
	ds_bpermute_b32 v6, v43, v15
	ds_bpermute_b32 v15, v31, v5
	v_cndmask_b32_e32 v0, v2, v0, vcc
	ds_bpermute_b32 v17, v48, v0
	ds_bpermute_b32 v2, v44, v13
	;; [unrolled: 1-line block ×4, first 2 shown]
	v_mov_b32_dpp v5, v9 quad_perm:[2,3,0,1] row_mask:0xf bank_mask:0xf
	v_and_b32_e32 v9, 3, v20
	ds_bpermute_b32 v0, v45, v12
	ds_bpermute_b32 v12, v42, v16
	;; [unrolled: 1-line block ×3, first 2 shown]
	s_waitcnt lgkmcnt(8)
	v_mov_b32_dpp v25, v6 quad_perm:[3,0,1,2] row_mask:0xf bank_mask:0xf
	v_mov_b32_dpp v6, v10 quad_perm:[2,3,0,1] row_mask:0xf bank_mask:0xf
	v_or_b32_e32 v10, 4, v9
	v_cmp_eq_u32_e32 vcc, 0, v10
	s_waitcnt lgkmcnt(4)
	v_mov_b32_dpp v7, v13 quad_perm:[2,3,0,1] row_mask:0xf bank_mask:0xf
	s_waitcnt lgkmcnt(3)
	v_mov_b32_dpp v4, v14 quad_perm:[2,3,0,1] row_mask:0xf bank_mask:0xf
	v_cndmask_b32_e32 v13, v21, v17, vcc
	v_cmp_eq_u32_e32 vcc, 4, v10
	v_mov_b32_dpp v3, v15 quad_perm:[1,2,3,0] row_mask:0xf bank_mask:0xf
	v_mov_b32_dpp v24, v2 quad_perm:[3,0,1,2] row_mask:0xf bank_mask:0xf
	v_cndmask_b32_e32 v14, v21, v17, vcc
	v_cmp_eq_u32_e32 vcc, 8, v10
	s_waitcnt lgkmcnt(0)
	v_mov_b32_dpp v2, v16 quad_perm:[1,2,3,0] row_mask:0xf bank_mask:0xf
	v_mov_b32_dpp v23, v0 quad_perm:[3,0,1,2] row_mask:0xf bank_mask:0xf
	v_cndmask_b32_e32 v15, v21, v17, vcc
	v_cmp_eq_u32_e32 vcc, 12, v10
	v_mov_b32_dpp v0, v22 quad_perm:[1,2,3,0] row_mask:0xf bank_mask:0xf
	ds_bpermute_b32 v8, v47, v8
	v_cndmask_b32_e32 v16, v21, v17, vcc
	v_cmp_eq_u32_e32 vcc, 15, v10
	v_mov_b32_dpp v12, v12 quad_perm:[3,0,1,2] row_mask:0xf bank_mask:0xf
	s_nop 0
	v_cndmask_b32_e32 v18, v21, v17, vcc
	v_cmp_eq_u32_e32 vcc, 14, v10
	s_nop 1
	v_cndmask_b32_e32 v22, v21, v17, vcc
	v_cmp_eq_u32_e32 vcc, 13, v10
	s_nop 1
	v_cndmask_b32_e32 v26, v21, v17, vcc
	v_cmp_eq_u32_e32 vcc, 11, v10
	s_nop 1
	v_cndmask_b32_e32 v27, v21, v17, vcc
	v_cmp_eq_u32_e32 vcc, 10, v10
	s_nop 1
	v_cndmask_b32_e32 v28, v21, v17, vcc
	v_cmp_eq_u32_e32 vcc, 9, v10
	s_nop 1
	v_cndmask_b32_e32 v29, v21, v17, vcc
	v_cmp_eq_u32_e32 vcc, 7, v10
	s_nop 1
	v_cndmask_b32_e32 v30, v21, v17, vcc
	v_cmp_eq_u32_e32 vcc, 6, v10
	s_nop 1
	v_cndmask_b32_e32 v31, v21, v17, vcc
	v_cmp_eq_u32_e32 vcc, 5, v10
	s_nop 1
	v_cndmask_b32_e32 v32, v21, v17, vcc
	v_cmp_eq_u32_e32 vcc, 3, v10
	s_nop 1
	v_cndmask_b32_e32 v33, v21, v17, vcc
	v_cmp_eq_u32_e32 vcc, 2, v10
	s_nop 1
	v_cndmask_b32_e32 v34, v21, v17, vcc
	v_cmp_eq_u32_e32 vcc, 1, v10
	s_nop 1
	v_cndmask_b32_e32 v10, v21, v17, vcc
	v_or_b32_e32 v17, 8, v9
	v_cmp_eq_u32_e32 vcc, 1, v17
	s_waitcnt lgkmcnt(0)
	s_nop 0
	v_cndmask_b32_e32 v10, v10, v8, vcc
	v_cmp_eq_u32_e32 vcc, 2, v17
	s_nop 1
	v_cndmask_b32_e32 v21, v34, v8, vcc
	v_cmp_eq_u32_e32 vcc, 3, v17
	;; [unrolled: 3-line block ×15, first 2 shown]
	s_nop 1
	v_cndmask_b32_e32 v8, v13, v8, vcc
	v_or_b32_e32 v13, 12, v9
	v_cmp_eq_u32_e32 vcc, 0, v13
	v_xor_b32_e32 v9, 2, v9
	s_nop 0
	v_cndmask_b32_e32 v8, v8, v11, vcc
	v_cmp_eq_u32_e32 vcc, 4, v13
	s_nop 1
	v_cndmask_b32_e32 v14, v14, v11, vcc
	v_cmp_eq_u32_e32 vcc, 8, v13
	;; [unrolled: 3-line block ×15, first 2 shown]
	s_nop 1
	v_cndmask_b32_e32 v10, v10, v11, vcc
	v_add_u32_e32 v11, -1, v20
	v_and_b32_e32 v11, 3, v11
	v_cmp_eq_u32_e32 vcc, 1, v11
	s_nop 1
	v_cndmask_b32_e32 v10, v10, v23, vcc
	v_cmp_eq_u32_e32 vcc, 2, v11
	s_nop 1
	v_cndmask_b32_e32 v13, v21, v23, vcc
	;; [unrolled: 3-line block ×16, first 2 shown]
	v_or_b32_e32 v23, 4, v11
	v_cmp_eq_u32_e32 vcc, 0, v23
	s_nop 1
	v_cndmask_b32_e32 v8, v8, v24, vcc
	v_cmp_eq_u32_e32 vcc, 4, v23
	s_nop 1
	v_cndmask_b32_e32 v14, v14, v24, vcc
	;; [unrolled: 3-line block ×15, first 2 shown]
	v_cmp_eq_u32_e32 vcc, 1, v23
	v_or_b32_e32 v23, 8, v11
	v_or_b32_e32 v11, 12, v11
	v_cndmask_b32_e32 v10, v10, v24, vcc
	v_cmp_eq_u32_e32 vcc, 1, v23
	s_nop 1
	v_cndmask_b32_e32 v10, v10, v25, vcc
	v_cmp_eq_u32_e32 vcc, 2, v23
	s_nop 1
	;; [unrolled: 3-line block ×48, first 2 shown]
	v_cndmask_b32_e32 v7, v8, v7, vcc
	v_or_b32_e32 v8, 4, v9
	v_cmp_eq_u32_e32 vcc, 0, v8
	s_nop 1
	v_cndmask_b32_e32 v7, v7, v6, vcc
	v_cmp_eq_u32_e32 vcc, 4, v8
	s_nop 1
	v_cndmask_b32_e32 v14, v14, v6, vcc
	;; [unrolled: 3-line block ×15, first 2 shown]
	v_cmp_eq_u32_e32 vcc, 1, v8
	v_or_b32_e32 v8, 8, v9
	s_nop 0
	v_cndmask_b32_e32 v6, v10, v6, vcc
	v_cmp_eq_u32_e32 vcc, 1, v8
	s_nop 1
	v_cndmask_b32_e32 v6, v6, v5, vcc
	v_cmp_eq_u32_e32 vcc, 2, v8
	;; [unrolled: 3-line block ×16, first 2 shown]
	s_nop 1
	v_cndmask_b32_e32 v5, v7, v5, vcc
	v_or_b32_e32 v7, 12, v9
	v_cmp_eq_u32_e32 vcc, 0, v7
	s_nop 1
	v_cndmask_b32_e32 v5, v5, v4, vcc
	v_cmp_eq_u32_e32 vcc, 4, v7
	s_nop 1
	v_cndmask_b32_e32 v8, v14, v4, vcc
	;; [unrolled: 3-line block ×16, first 2 shown]
	v_add_u32_e32 v6, 3, v9
	v_and_b32_e32 v7, 3, v6
	v_cmp_eq_u32_e32 vcc, 1, v7
	s_nop 1
	v_cndmask_b32_e32 v4, v4, v3, vcc
	v_cmp_eq_u32_e32 vcc, 2, v7
	s_nop 1
	v_cndmask_b32_e32 v9, v10, v3, vcc
	v_cmp_eq_u32_e32 vcc, 3, v7
	s_nop 1
	v_cndmask_b32_e32 v10, v11, v3, vcc
	v_cmp_eq_u32_e32 vcc, 5, v7
	s_nop 1
	v_cndmask_b32_e32 v11, v12, v3, vcc
	v_cmp_eq_u32_e32 vcc, 6, v7
	s_nop 1
	v_cndmask_b32_e32 v12, v13, v3, vcc
	v_cmp_eq_u32_e32 vcc, 7, v7
	s_nop 1
	v_cndmask_b32_e32 v13, v20, v3, vcc
	v_cmp_eq_u32_e32 vcc, 9, v7
	s_nop 1
	v_cndmask_b32_e32 v20, v21, v3, vcc
	v_cmp_eq_u32_e32 vcc, 10, v7
	s_nop 1
	v_cndmask_b32_e32 v21, v23, v3, vcc
	v_cmp_eq_u32_e32 vcc, 11, v7
	s_nop 1
	v_cndmask_b32_e32 v22, v22, v3, vcc
	v_cmp_eq_u32_e32 vcc, 13, v7
	s_nop 1
	v_cndmask_b32_e32 v18, v18, v3, vcc
	v_cmp_eq_u32_e32 vcc, 14, v7
	s_nop 1
	v_cndmask_b32_e32 v17, v17, v3, vcc
	v_cmp_eq_u32_e32 vcc, 15, v7
	s_nop 1
	v_cndmask_b32_e32 v16, v16, v3, vcc
	v_cmp_eq_u32_e32 vcc, 12, v7
	s_nop 1
	v_cndmask_b32_e32 v15, v15, v3, vcc
	v_cmp_eq_u32_e32 vcc, 8, v7
	s_nop 1
	v_cndmask_b32_e32 v14, v14, v3, vcc
	v_cmp_eq_u32_e32 vcc, 4, v7
	s_nop 1
	v_cndmask_b32_e32 v8, v8, v3, vcc
	v_cmp_eq_u32_e32 vcc, 0, v7
	s_nop 1
	v_cndmask_b32_e32 v3, v5, v3, vcc
	v_or_b32_e32 v5, 4, v6
	v_cmp_eq_u32_e32 vcc, 0, v5
	s_nop 1
	v_cndmask_b32_e32 v3, v3, v2, vcc
	v_cmp_eq_u32_e32 vcc, 4, v5
	s_nop 1
	v_cndmask_b32_e32 v8, v8, v2, vcc
	v_cmp_eq_u32_e32 vcc, 8, v5
	s_nop 1
	v_cndmask_b32_e32 v14, v14, v2, vcc
	v_cmp_eq_u32_e32 vcc, 12, v5
	s_nop 1
	v_cndmask_b32_e32 v15, v15, v2, vcc
	v_cmp_eq_u32_e32 vcc, 15, v5
	s_nop 1
	v_cndmask_b32_e32 v16, v16, v2, vcc
	v_cmp_eq_u32_e32 vcc, 14, v5
	s_nop 1
	v_cndmask_b32_e32 v17, v17, v2, vcc
	v_cmp_eq_u32_e32 vcc, 13, v5
	s_nop 1
	v_cndmask_b32_e32 v18, v18, v2, vcc
	v_cmp_eq_u32_e32 vcc, 11, v5
	s_nop 1
	v_cndmask_b32_e32 v22, v22, v2, vcc
	v_cmp_eq_u32_e32 vcc, 10, v5
	s_nop 1
	v_cndmask_b32_e32 v21, v21, v2, vcc
	v_cmp_eq_u32_e32 vcc, 9, v5
	s_nop 1
	v_cndmask_b32_e32 v20, v20, v2, vcc
	v_cmp_eq_u32_e32 vcc, 7, v5
	s_nop 1
	v_cndmask_b32_e32 v13, v13, v2, vcc
	v_cmp_eq_u32_e32 vcc, 6, v5
	s_nop 1
	v_cndmask_b32_e32 v12, v12, v2, vcc
	v_cmp_eq_u32_e32 vcc, 5, v5
	s_nop 1
	v_cndmask_b32_e32 v11, v11, v2, vcc
	v_cmp_eq_u32_e32 vcc, 3, v5
	s_nop 1
	v_cndmask_b32_e32 v10, v10, v2, vcc
	v_cmp_eq_u32_e32 vcc, 2, v5
	s_nop 1
	v_cndmask_b32_e32 v9, v9, v2, vcc
	v_cmp_eq_u32_e32 vcc, 1, v5
	s_nop 1
	v_cndmask_b32_e32 v2, v4, v2, vcc
	v_or_b32_e32 v4, 8, v7
	v_cmp_eq_u32_e32 vcc, 1, v4
	s_nop 1
	v_cndmask_b32_e32 v2, v2, v1, vcc
	v_cmp_eq_u32_e32 vcc, 2, v4
	s_nop 1
	v_cndmask_b32_e32 v5, v9, v1, vcc
	v_cmp_eq_u32_e32 vcc, 3, v4
	s_nop 1
	v_cndmask_b32_e32 v7, v10, v1, vcc
	v_cmp_eq_u32_e32 vcc, 5, v4
	s_nop 1
	v_cndmask_b32_e32 v9, v11, v1, vcc
	v_cmp_eq_u32_e32 vcc, 6, v4
	s_nop 1
	v_cndmask_b32_e32 v10, v12, v1, vcc
	v_cmp_eq_u32_e32 vcc, 7, v4
	s_nop 1
	v_cndmask_b32_e32 v11, v13, v1, vcc
	v_cmp_eq_u32_e32 vcc, 9, v4
	s_nop 1
	v_cndmask_b32_e32 v12, v20, v1, vcc
	v_cmp_eq_u32_e32 vcc, 10, v4
	s_nop 1
	v_cndmask_b32_e32 v13, v21, v1, vcc
	v_cmp_eq_u32_e32 vcc, 11, v4
	s_nop 1
	v_cndmask_b32_e32 v20, v22, v1, vcc
	v_cmp_eq_u32_e32 vcc, 13, v4
	s_nop 1
	v_cndmask_b32_e32 v21, v18, v1, vcc
	v_cmp_eq_u32_e32 vcc, 14, v4
	s_nop 1
	v_cndmask_b32_e32 v17, v17, v1, vcc
	v_cmp_eq_u32_e32 vcc, 15, v4
	s_nop 1
	v_cndmask_b32_e32 v16, v16, v1, vcc
	v_cmp_eq_u32_e32 vcc, 12, v4
	s_nop 1
	v_cndmask_b32_e32 v15, v15, v1, vcc
	v_cmp_eq_u32_e32 vcc, 8, v4
	s_nop 1
	v_cndmask_b32_e32 v14, v14, v1, vcc
	v_cmp_eq_u32_e32 vcc, 4, v4
	s_nop 1
	v_cndmask_b32_e32 v8, v8, v1, vcc
	v_cmp_eq_u32_e32 vcc, 0, v4
	s_nop 1
	v_cndmask_b32_e32 v1, v3, v1, vcc
	v_or_b32_e32 v3, 12, v6
	v_cmp_eq_u32_e32 vcc, 0, v3
	s_nop 1
	v_cndmask_b32_e32 v18, v1, v0, vcc
	v_cmp_eq_u32_e32 vcc, 4, v3
	s_nop 1
	v_cndmask_b32_e32 v22, v8, v0, vcc
	;; [unrolled: 3-line block ×5, first 2 shown]
	v_cmp_eq_u32_e32 vcc, 14, v3
	s_nop 0
	v_mov_b32_dpp v33, v4 quad_perm:[3,0,1,2] row_mask:0xf bank_mask:0xf
	v_cndmask_b32_e32 v1, v17, v0, vcc
	v_cmp_eq_u32_e32 vcc, 13, v3
	s_nop 0
	v_mov_b32_dpp v1, v1 quad_perm:[2,3,0,1] row_mask:0xf bank_mask:0xf
	v_cndmask_b32_e32 v6, v21, v0, vcc
	v_cmp_eq_u32_e32 vcc, 11, v3
	s_nop 1
	v_cndmask_b32_e32 v8, v20, v0, vcc
	v_cmp_eq_u32_e32 vcc, 10, v3
	s_nop 0
	v_mov_b32_dpp v29, v8 quad_perm:[3,0,1,2] row_mask:0xf bank_mask:0xf
	v_cndmask_b32_e32 v13, v13, v0, vcc
	v_cmp_eq_u32_e32 vcc, 9, v3
	s_nop 0
	v_mov_b32_dpp v35, v13 quad_perm:[2,3,0,1] row_mask:0xf bank_mask:0xf
	;; [unrolled: 4-line block ×8, first 2 shown]
	v_cndmask_b32_e32 v0, v2, v0, vcc
	s_nop 1
	v_mov_b32_dpp v38, v0 quad_perm:[1,2,3,0] row_mask:0xf bank_mask:0xf
	v_mov_b32_dpp v0, v6 quad_perm:[1,2,3,0] row_mask:0xf bank_mask:0xf
.LBB5_4:
	v_lshlrev_b32_e32 v2, 2, v19
	v_mov_b32_e32 v19, v38
	v_mov_b32_e32 v20, v39
	;; [unrolled: 1-line block ×8, first 2 shown]
	global_store_dwordx4 v2, v[18:21], s[98:99]
	global_store_dwordx4 v2, v[22:25], s[98:99] offset:16
	global_store_dwordx4 v2, v[26:29], s[98:99] offset:32
	;; [unrolled: 1-line block ×3, first 2 shown]
	s_endpgm
	.section	.rodata,"a",@progbits
	.p2align	6, 0x0
	.amdhsa_kernel _Z20warp_exchange_kernelILj16ELj64EN6common25StripedToBlockedShuffleOpEfEvPT2_S3_b
		.amdhsa_group_segment_fixed_size 0
		.amdhsa_private_segment_fixed_size 0
		.amdhsa_kernarg_size 20
		.amdhsa_user_sgpr_count 2
		.amdhsa_user_sgpr_dispatch_ptr 0
		.amdhsa_user_sgpr_queue_ptr 0
		.amdhsa_user_sgpr_kernarg_segment_ptr 1
		.amdhsa_user_sgpr_dispatch_id 0
		.amdhsa_user_sgpr_kernarg_preload_length 0
		.amdhsa_user_sgpr_kernarg_preload_offset 0
		.amdhsa_user_sgpr_private_segment_size 0
		.amdhsa_uses_dynamic_stack 0
		.amdhsa_enable_private_segment 0
		.amdhsa_system_sgpr_workgroup_id_x 1
		.amdhsa_system_sgpr_workgroup_id_y 0
		.amdhsa_system_sgpr_workgroup_id_z 0
		.amdhsa_system_sgpr_workgroup_info 0
		.amdhsa_system_vgpr_workitem_id 0
		.amdhsa_next_free_vgpr 86
		.amdhsa_next_free_sgpr 100
		.amdhsa_accum_offset 88
		.amdhsa_reserve_vcc 1
		.amdhsa_float_round_mode_32 0
		.amdhsa_float_round_mode_16_64 0
		.amdhsa_float_denorm_mode_32 3
		.amdhsa_float_denorm_mode_16_64 3
		.amdhsa_dx10_clamp 1
		.amdhsa_ieee_mode 1
		.amdhsa_fp16_overflow 0
		.amdhsa_tg_split 0
		.amdhsa_exception_fp_ieee_invalid_op 0
		.amdhsa_exception_fp_denorm_src 0
		.amdhsa_exception_fp_ieee_div_zero 0
		.amdhsa_exception_fp_ieee_overflow 0
		.amdhsa_exception_fp_ieee_underflow 0
		.amdhsa_exception_fp_ieee_inexact 0
		.amdhsa_exception_int_div_zero 0
	.end_amdhsa_kernel
	.section	.text._Z20warp_exchange_kernelILj16ELj64EN6common25StripedToBlockedShuffleOpEfEvPT2_S3_b,"axG",@progbits,_Z20warp_exchange_kernelILj16ELj64EN6common25StripedToBlockedShuffleOpEfEvPT2_S3_b,comdat
.Lfunc_end5:
	.size	_Z20warp_exchange_kernelILj16ELj64EN6common25StripedToBlockedShuffleOpEfEvPT2_S3_b, .Lfunc_end5-_Z20warp_exchange_kernelILj16ELj64EN6common25StripedToBlockedShuffleOpEfEvPT2_S3_b
                                        ; -- End function
	.section	.AMDGPU.csdata,"",@progbits
; Kernel info:
; codeLenInByte = 13228
; NumSgprs: 106
; NumVgprs: 86
; NumAgprs: 0
; TotalNumVgprs: 86
; ScratchSize: 0
; MemoryBound: 0
; FloatMode: 240
; IeeeMode: 1
; LDSByteSize: 0 bytes/workgroup (compile time only)
; SGPRBlocks: 13
; VGPRBlocks: 10
; NumSGPRsForWavesPerEU: 106
; NumVGPRsForWavesPerEU: 86
; AccumOffset: 88
; Occupancy: 5
; WaveLimiterHint : 0
; COMPUTE_PGM_RSRC2:SCRATCH_EN: 0
; COMPUTE_PGM_RSRC2:USER_SGPR: 2
; COMPUTE_PGM_RSRC2:TRAP_HANDLER: 0
; COMPUTE_PGM_RSRC2:TGID_X_EN: 1
; COMPUTE_PGM_RSRC2:TGID_Y_EN: 0
; COMPUTE_PGM_RSRC2:TGID_Z_EN: 0
; COMPUTE_PGM_RSRC2:TIDIG_COMP_CNT: 0
; COMPUTE_PGM_RSRC3_GFX90A:ACCUM_OFFSET: 21
; COMPUTE_PGM_RSRC3_GFX90A:TG_SPLIT: 0
	.section	.text._Z20warp_exchange_kernelILj8ELj8EN6common25StripedToBlockedShuffleOpE12hip_bfloat16EvPT2_S4_b,"axG",@progbits,_Z20warp_exchange_kernelILj8ELj8EN6common25StripedToBlockedShuffleOpE12hip_bfloat16EvPT2_S4_b,comdat
	.protected	_Z20warp_exchange_kernelILj8ELj8EN6common25StripedToBlockedShuffleOpE12hip_bfloat16EvPT2_S4_b ; -- Begin function _Z20warp_exchange_kernelILj8ELj8EN6common25StripedToBlockedShuffleOpE12hip_bfloat16EvPT2_S4_b
	.globl	_Z20warp_exchange_kernelILj8ELj8EN6common25StripedToBlockedShuffleOpE12hip_bfloat16EvPT2_S4_b
	.p2align	8
	.type	_Z20warp_exchange_kernelILj8ELj8EN6common25StripedToBlockedShuffleOpE12hip_bfloat16EvPT2_S4_b,@function
_Z20warp_exchange_kernelILj8ELj8EN6common25StripedToBlockedShuffleOpE12hip_bfloat16EvPT2_S4_b: ; @_Z20warp_exchange_kernelILj8ELj8EN6common25StripedToBlockedShuffleOpE12hip_bfloat16EvPT2_S4_b
; %bb.0:
	s_load_dwordx4 s[4:7], s[2:3], 0x0
	s_load_dword s8, s[2:3], 0x10
	v_and_b32_e32 v1, 0x3ff, v0
	v_lshlrev_b32_e32 v2, 4, v1
	s_load_dwordx2 s[0:1], s[0:1], 0x4
	s_waitcnt lgkmcnt(0)
	global_load_dwordx4 v[2:5], v2, s[4:5]
	v_bfe_u32 v7, v0, 10, 10
	v_bfe_u32 v0, v0, 20, 10
	s_and_b32 s2, s8, 1
	s_lshr_b32 s0, s0, 16
	s_mul_i32 s0, s0, s1
	v_mul_lo_u32 v6, s0, v1
	v_mul_u32_u24_e32 v7, s1, v7
	v_add3_u32 v6, v6, v7, v0
	v_lshlrev_b32_e32 v0, 3, v1
	v_mbcnt_lo_u32_b32 v1, -1, 0
	v_mbcnt_hi_u32_b32 v7, -1, v1
	v_and_b32_e32 v8, 4, v7
	v_lshlrev_b32_e32 v1, 1, v8
	v_cmp_eq_u32_e32 vcc, 0, v8
	s_cmp_eq_u32 s2, 0
	v_xor_b32_e32 v15, 8, v1
	v_lshlrev_b32_e32 v1, 4, v6
	v_cndmask_b32_e64 v14, 2, 10, vcc
	v_cndmask_b32_e64 v13, 4, 12, vcc
	;; [unrolled: 1-line block ×3, first 2 shown]
	v_and_b32_e32 v11, 2, v7
	v_and_b32_e32 v10, 1, v7
	s_cbranch_scc0 .LBB6_2
; %bb.1:
	s_waitcnt vmcnt(0)
	ds_write_b128 v1, v[2:5]
	v_or_b32_e32 v6, v1, v15
	ds_read_u16 v7, v6
	v_or_b32_e32 v8, v1, v14
	v_lshlrev_b32_e32 v9, 1, v11
	v_xor_b32_e32 v9, 4, v9
	v_or_b32_e32 v9, v1, v9
	s_waitcnt lgkmcnt(0)
	ds_swizzle_b32 v7, v7 offset:swizzle(SWAP,4)
	v_cmp_eq_u32_e32 vcc, 0, v11
	v_cmp_eq_u32_e64 s[0:1], 0, v10
	s_waitcnt lgkmcnt(0)
	ds_write_b16 v6, v7
	ds_read_u16 v6, v8
	v_or_b32_e32 v7, v1, v13
	v_cndmask_b32_e64 v16, 2, 6, vcc
	v_or_b32_e32 v16, v1, v16
	v_cndmask_b32_e64 v17, 8, 12, vcc
	s_waitcnt lgkmcnt(0)
	ds_swizzle_b32 v6, v6 offset:swizzle(SWAP,4)
	v_or_b32_e32 v17, v1, v17
	v_cndmask_b32_e64 v18, 10, 14, vcc
	v_or_b32_e32 v18, v1, v18
	v_cndmask_b32_e64 v19, 12, 14, s[0:1]
	s_waitcnt lgkmcnt(0)
	ds_write_b16 v8, v6
	ds_read_u16 v6, v7
	v_or_b32_e32 v8, v1, v12
	v_or_b32_e32 v19, v1, v19
	s_waitcnt lgkmcnt(0)
	ds_swizzle_b32 v6, v6 offset:swizzle(SWAP,4)
	s_waitcnt lgkmcnt(0)
	ds_write_b16 v7, v6
	ds_read_u16 v6, v8
	ds_read_u16 v7, v9
	s_waitcnt lgkmcnt(1)
	ds_swizzle_b32 v6, v6 offset:swizzle(SWAP,4)
	s_waitcnt lgkmcnt(1)
	ds_swizzle_b32 v7, v7 offset:swizzle(SWAP,2)
	s_waitcnt lgkmcnt(1)
	ds_write_b16 v8, v6
	s_waitcnt lgkmcnt(1)
	ds_write_b16 v9, v7
	ds_read_u16 v6, v16
	ds_read_u16 v7, v17
	v_lshlrev_b32_e32 v8, 1, v10
	v_xor_b32_e32 v8, 2, v8
	v_cndmask_b32_e64 v9, 4, 6, s[0:1]
	s_waitcnt lgkmcnt(1)
	ds_swizzle_b32 v6, v6 offset:swizzle(SWAP,2)
	s_waitcnt lgkmcnt(1)
	ds_swizzle_b32 v7, v7 offset:swizzle(SWAP,2)
	v_or_b32_e32 v8, v1, v8
	v_or_b32_e32 v9, v1, v9
	s_waitcnt lgkmcnt(1)
	ds_write_b16 v16, v6
	s_waitcnt lgkmcnt(1)
	ds_write_b16 v17, v7
	ds_read_u16 v7, v18
	ds_read_u16 v6, v8
	;; [unrolled: 1-line block ×3, first 2 shown]
	v_cndmask_b32_e64 v17, 8, 10, s[0:1]
	v_or_b32_e32 v17, v1, v17
	s_waitcnt lgkmcnt(2)
	ds_swizzle_b32 v7, v7 offset:swizzle(SWAP,2)
	s_waitcnt lgkmcnt(2)
	ds_swizzle_b32 v6, v6 offset:swizzle(SWAP,1)
	;; [unrolled: 2-line block ×3, first 2 shown]
	s_waitcnt lgkmcnt(2)
	ds_write_b16 v18, v7
	ds_read_u16 v7, v17
	ds_read_u16 v18, v19
	s_waitcnt lgkmcnt(1)
	ds_swizzle_b32 v7, v7 offset:swizzle(SWAP,1)
	s_waitcnt lgkmcnt(1)
	ds_swizzle_b32 v18, v18 offset:swizzle(SWAP,1)
	ds_write_b16 v8, v6
	ds_write_b16 v9, v16
	s_waitcnt lgkmcnt(3)
	ds_write_b16 v17, v7
	s_waitcnt lgkmcnt(3)
	ds_write_b16 v19, v18
	ds_read_b128 v[6:9], v1
	s_cbranch_execz .LBB6_3
	s_branch .LBB6_4
.LBB6_2:
                                        ; implicit-def: $vgpr8_vgpr9
.LBB6_3:
	s_waitcnt lgkmcnt(0)
	v_add_u32_e32 v6, 0x4000, v1
	s_waitcnt vmcnt(0)
	ds_write_b128 v1, v[2:5] offset:16384
	v_or_b32_e32 v2, v6, v15
	ds_read_u16 v3, v2
	v_or_b32_e32 v4, v6, v14
	v_or_b32_e32 v5, v6, v12
	v_cmp_eq_u32_e32 vcc, 0, v11
	v_cmp_eq_u32_e64 s[0:1], 0, v10
	s_waitcnt lgkmcnt(0)
	ds_swizzle_b32 v3, v3 offset:swizzle(SWAP,4)
	v_cndmask_b32_e64 v7, 2, 6, vcc
	v_or_b32_e32 v7, v6, v7
	v_cndmask_b32_e64 v8, 8, 12, vcc
	v_or_b32_e32 v8, v6, v8
	s_waitcnt lgkmcnt(0)
	ds_write_b16 v2, v3
	ds_read_u16 v2, v4
	v_or_b32_e32 v3, v6, v13
	v_cndmask_b32_e64 v9, 10, 14, vcc
	v_or_b32_e32 v9, v6, v9
	s_waitcnt lgkmcnt(0)
	ds_swizzle_b32 v2, v2 offset:swizzle(SWAP,4)
	s_waitcnt lgkmcnt(0)
	ds_write_b16 v4, v2
	ds_read_u16 v2, v3
	v_lshlrev_b32_e32 v4, 1, v11
	v_xor_b32_e32 v4, 4, v4
	v_or_b32_e32 v4, v6, v4
	s_waitcnt lgkmcnt(0)
	ds_swizzle_b32 v2, v2 offset:swizzle(SWAP,4)
	s_waitcnt lgkmcnt(0)
	ds_write_b16 v3, v2
	ds_read_u16 v2, v5
	ds_read_u16 v3, v4
	s_waitcnt lgkmcnt(1)
	ds_swizzle_b32 v2, v2 offset:swizzle(SWAP,4)
	s_waitcnt lgkmcnt(1)
	ds_swizzle_b32 v3, v3 offset:swizzle(SWAP,2)
	s_waitcnt lgkmcnt(1)
	ds_write_b16 v5, v2
	s_waitcnt lgkmcnt(1)
	ds_write_b16 v4, v3
	ds_read_u16 v2, v7
	ds_read_u16 v3, v8
	v_lshlrev_b32_e32 v4, 1, v10
	v_xor_b32_e32 v4, 2, v4
	v_cndmask_b32_e64 v5, 4, 6, s[0:1]
	s_waitcnt lgkmcnt(1)
	ds_swizzle_b32 v2, v2 offset:swizzle(SWAP,2)
	s_waitcnt lgkmcnt(1)
	ds_swizzle_b32 v3, v3 offset:swizzle(SWAP,2)
	v_or_b32_e32 v4, v6, v4
	v_or_b32_e32 v5, v6, v5
	v_cndmask_b32_e64 v10, 12, 14, s[0:1]
	s_waitcnt lgkmcnt(1)
	ds_write_b16 v7, v2
	s_waitcnt lgkmcnt(1)
	ds_write_b16 v8, v3
	ds_read_u16 v3, v9
	ds_read_u16 v2, v4
	;; [unrolled: 1-line block ×3, first 2 shown]
	v_cndmask_b32_e64 v8, 8, 10, s[0:1]
	v_or_b32_e32 v8, v6, v8
	v_or_b32_e32 v6, v6, v10
	s_waitcnt lgkmcnt(2)
	ds_swizzle_b32 v3, v3 offset:swizzle(SWAP,2)
	s_waitcnt lgkmcnt(2)
	ds_swizzle_b32 v2, v2 offset:swizzle(SWAP,1)
	s_waitcnt lgkmcnt(2)
	ds_swizzle_b32 v7, v7 offset:swizzle(SWAP,1)
	s_waitcnt lgkmcnt(2)
	ds_write_b16 v9, v3
	ds_read_u16 v3, v8
	ds_read_u16 v9, v6
	s_waitcnt lgkmcnt(1)
	ds_swizzle_b32 v3, v3 offset:swizzle(SWAP,1)
	s_waitcnt lgkmcnt(1)
	ds_swizzle_b32 v9, v9 offset:swizzle(SWAP,1)
	ds_write_b16 v4, v2
	ds_write_b16 v5, v7
	s_waitcnt lgkmcnt(3)
	ds_write_b16 v8, v3
	s_waitcnt lgkmcnt(3)
	ds_write_b16 v6, v9
	ds_read_b128 v[6:9], v1 offset:16384
.LBB6_4:
	v_lshlrev_b32_e32 v0, 1, v0
	s_waitcnt lgkmcnt(0)
	global_store_dwordx4 v0, v[6:9], s[6:7]
	s_endpgm
	.section	.rodata,"a",@progbits
	.p2align	6, 0x0
	.amdhsa_kernel _Z20warp_exchange_kernelILj8ELj8EN6common25StripedToBlockedShuffleOpE12hip_bfloat16EvPT2_S4_b
		.amdhsa_group_segment_fixed_size 32768
		.amdhsa_private_segment_fixed_size 0
		.amdhsa_kernarg_size 20
		.amdhsa_user_sgpr_count 4
		.amdhsa_user_sgpr_dispatch_ptr 1
		.amdhsa_user_sgpr_queue_ptr 0
		.amdhsa_user_sgpr_kernarg_segment_ptr 1
		.amdhsa_user_sgpr_dispatch_id 0
		.amdhsa_user_sgpr_kernarg_preload_length 0
		.amdhsa_user_sgpr_kernarg_preload_offset 0
		.amdhsa_user_sgpr_private_segment_size 0
		.amdhsa_uses_dynamic_stack 0
		.amdhsa_enable_private_segment 0
		.amdhsa_system_sgpr_workgroup_id_x 1
		.amdhsa_system_sgpr_workgroup_id_y 0
		.amdhsa_system_sgpr_workgroup_id_z 0
		.amdhsa_system_sgpr_workgroup_info 0
		.amdhsa_system_vgpr_workitem_id 2
		.amdhsa_next_free_vgpr 20
		.amdhsa_next_free_sgpr 9
		.amdhsa_accum_offset 20
		.amdhsa_reserve_vcc 1
		.amdhsa_float_round_mode_32 0
		.amdhsa_float_round_mode_16_64 0
		.amdhsa_float_denorm_mode_32 3
		.amdhsa_float_denorm_mode_16_64 3
		.amdhsa_dx10_clamp 1
		.amdhsa_ieee_mode 1
		.amdhsa_fp16_overflow 0
		.amdhsa_tg_split 0
		.amdhsa_exception_fp_ieee_invalid_op 0
		.amdhsa_exception_fp_denorm_src 0
		.amdhsa_exception_fp_ieee_div_zero 0
		.amdhsa_exception_fp_ieee_overflow 0
		.amdhsa_exception_fp_ieee_underflow 0
		.amdhsa_exception_fp_ieee_inexact 0
		.amdhsa_exception_int_div_zero 0
	.end_amdhsa_kernel
	.section	.text._Z20warp_exchange_kernelILj8ELj8EN6common25StripedToBlockedShuffleOpE12hip_bfloat16EvPT2_S4_b,"axG",@progbits,_Z20warp_exchange_kernelILj8ELj8EN6common25StripedToBlockedShuffleOpE12hip_bfloat16EvPT2_S4_b,comdat
.Lfunc_end6:
	.size	_Z20warp_exchange_kernelILj8ELj8EN6common25StripedToBlockedShuffleOpE12hip_bfloat16EvPT2_S4_b, .Lfunc_end6-_Z20warp_exchange_kernelILj8ELj8EN6common25StripedToBlockedShuffleOpE12hip_bfloat16EvPT2_S4_b
                                        ; -- End function
	.section	.AMDGPU.csdata,"",@progbits
; Kernel info:
; codeLenInByte = 1256
; NumSgprs: 15
; NumVgprs: 20
; NumAgprs: 0
; TotalNumVgprs: 20
; ScratchSize: 0
; MemoryBound: 0
; FloatMode: 240
; IeeeMode: 1
; LDSByteSize: 32768 bytes/workgroup (compile time only)
; SGPRBlocks: 1
; VGPRBlocks: 2
; NumSGPRsForWavesPerEU: 15
; NumVGPRsForWavesPerEU: 20
; AccumOffset: 20
; Occupancy: 8
; WaveLimiterHint : 0
; COMPUTE_PGM_RSRC2:SCRATCH_EN: 0
; COMPUTE_PGM_RSRC2:USER_SGPR: 4
; COMPUTE_PGM_RSRC2:TRAP_HANDLER: 0
; COMPUTE_PGM_RSRC2:TGID_X_EN: 1
; COMPUTE_PGM_RSRC2:TGID_Y_EN: 0
; COMPUTE_PGM_RSRC2:TGID_Z_EN: 0
; COMPUTE_PGM_RSRC2:TIDIG_COMP_CNT: 2
; COMPUTE_PGM_RSRC3_GFX90A:ACCUM_OFFSET: 4
; COMPUTE_PGM_RSRC3_GFX90A:TG_SPLIT: 0
	.section	.text._Z20warp_exchange_kernelILj64ELj64EN6common25StripedToBlockedShuffleOpEdEvPT2_S3_b,"axG",@progbits,_Z20warp_exchange_kernelILj64ELj64EN6common25StripedToBlockedShuffleOpEdEvPT2_S3_b,comdat
	.protected	_Z20warp_exchange_kernelILj64ELj64EN6common25StripedToBlockedShuffleOpEdEvPT2_S3_b ; -- Begin function _Z20warp_exchange_kernelILj64ELj64EN6common25StripedToBlockedShuffleOpEdEvPT2_S3_b
	.globl	_Z20warp_exchange_kernelILj64ELj64EN6common25StripedToBlockedShuffleOpEdEvPT2_S3_b
	.p2align	8
	.type	_Z20warp_exchange_kernelILj64ELj64EN6common25StripedToBlockedShuffleOpEdEvPT2_S3_b,@function
_Z20warp_exchange_kernelILj64ELj64EN6common25StripedToBlockedShuffleOpEdEvPT2_S3_b: ; @_Z20warp_exchange_kernelILj64ELj64EN6common25StripedToBlockedShuffleOpEdEvPT2_S3_b
; %bb.0:
	s_load_dword s2, s[0:1], 0x10
	s_load_dwordx4 s[4:7], s[0:1], 0x0
	v_lshlrev_b32_e32 v1, 6, v0
	v_lshlrev_b32_e32 v0, 9, v0
	scratch_store_dword off, v1, off offset:528 ; 4-byte Folded Spill
	v_mbcnt_lo_u32_b32 v1, -1, 0
	s_waitcnt lgkmcnt(0)
	global_load_dwordx4 v[2:5], v0, s[4:5] offset:48
	s_bitcmp0_b32 s2, 0
	v_mbcnt_hi_u32_b32 v58, -1, v1
	s_waitcnt vmcnt(0)
	scratch_store_dwordx4 off, v[2:5], off offset:532 ; 16-byte Folded Spill
	global_load_dwordx4 v[120:123], v0, s[4:5] offset:32
	global_load_dwordx4 v[124:127], v0, s[4:5] offset:16
	global_load_dwordx4 v[112:115], v0, s[4:5]
	global_load_dwordx4 v[92:95], v0, s[4:5] offset:112
	global_load_dwordx4 v[104:107], v0, s[4:5] offset:96
	;; [unrolled: 1-line block ×28, first 2 shown]
	s_waitcnt vmcnt(19)
	scratch_store_dwordx4 off, v[2:5], off offset:548 ; 16-byte Folded Spill
	s_waitcnt vmcnt(19)
	scratch_store_dwordx4 off, v[6:9], off offset:564 ; 16-byte Folded Spill
	;; [unrolled: 2-line block ×3, first 2 shown]
	scratch_store_dwordx4 off, v[14:17], off offset:596 ; 16-byte Folded Spill
	scratch_store_dwordx4 off, v[18:21], off offset:612 ; 16-byte Folded Spill
	scratch_store_dwordx4 off, v[22:25], off offset:628 ; 16-byte Folded Spill
	scratch_store_dwordx4 off, v[26:29], off offset:644 ; 16-byte Folded Spill
	s_waitcnt vmcnt(9)
	scratch_store_dwordx4 off, v[30:33], off offset:660 ; 16-byte Folded Spill
	scratch_store_dwordx4 off, v[34:37], off offset:676 ; 16-byte Folded Spill
	scratch_store_dwordx4 off, v[38:41], off offset:692 ; 16-byte Folded Spill
	scratch_store_dwordx4 off, v[42:45], off offset:708 ; 16-byte Folded Spill
	s_waitcnt vmcnt(12)
	;; [unrolled: 5-line block ×3, first 2 shown]
	scratch_store_dwordx4 off, v[64:67], off offset:788 ; 16-byte Folded Spill
	scratch_store_dwordx4 off, v[68:71], off offset:804 ; 16-byte Folded Spill
	;; [unrolled: 1-line block ×16, first 2 shown]
	s_cbranch_scc0 .LBB7_2
; %bb.1:
	scratch_store_dwordx4 off, v[112:115], off
	scratch_store_dwordx4 off, v[124:127], off offset:16
	scratch_store_dwordx4 off, v[120:123], off offset:32
	scratch_load_dwordx4 v[112:115], off, off offset:532 ; 16-byte Folded Reload
	v_and_b32_e32 v0, 32, v58
	v_cmp_eq_u32_e32 vcc, 0, v0
	v_lshlrev_b32_e32 v0, 3, v0
	v_mov_b32_e32 v59, 0x1f8
	s_waitcnt vmcnt(0)
	scratch_store_dwordx4 off, v[112:115], off offset:48
	scratch_store_dwordx4 off, v[116:119], off offset:64
	;; [unrolled: 1-line block ×29, first 2 shown]
	v_xor_b32_e32 v2, 0x100, v0
	scratch_load_dwordx2 v[0:1], v2, off
	v_and_b32_e32 v4, 64, v58
	v_xor_b32_e32 v3, 32, v58
	v_add_u32_e32 v4, 64, v4
	v_cmp_lt_i32_e64 s[0:1], v3, v4
	v_mov_b32_e32 v30, 0x108
	v_mov_b32_e32 v27, 0x110
	v_cndmask_b32_e64 v3, v58, v3, s[0:1]
	v_lshlrev_b32_e32 v54, 2, v3
	v_mov_b32_e32 v29, 0x118
	v_mov_b32_e32 v24, 0x120
	;; [unrolled: 1-line block ×48, first 2 shown]
	v_cndmask_b32_e32 v55, v33, v59, vcc
	s_waitcnt vmcnt(0)
	ds_bpermute_b32 v0, v54, v0
	ds_bpermute_b32 v1, v54, v1
	s_waitcnt lgkmcnt(0)
	scratch_store_dwordx2 v2, v[0:1], off
	v_cndmask_b32_e32 v2, 8, v30, vcc
	scratch_load_dwordx2 v[0:1], v2, off
	s_waitcnt vmcnt(0)
	ds_bpermute_b32 v0, v54, v0
	ds_bpermute_b32 v1, v54, v1
	s_waitcnt lgkmcnt(0)
	scratch_store_dwordx2 v2, v[0:1], off
	v_cndmask_b32_e32 v2, 16, v27, vcc
	scratch_load_dwordx2 v[0:1], v2, off
	;; [unrolled: 7-line block ×25, first 2 shown]
	s_waitcnt vmcnt(0)
	ds_bpermute_b32 v0, v54, v0
	ds_bpermute_b32 v1, v54, v1
	s_waitcnt lgkmcnt(0)
	scratch_store_dwordx2 v2, v[0:1], off
	v_mov_b32_e32 v2, 0x1d0
	v_cndmask_b32_e32 v3, v35, v2, vcc
	scratch_load_dwordx2 v[0:1], v3, off
	s_waitcnt vmcnt(0)
	ds_bpermute_b32 v0, v54, v0
	ds_bpermute_b32 v1, v54, v1
	s_waitcnt lgkmcnt(0)
	scratch_store_dwordx2 v3, v[0:1], off
	v_cndmask_b32_e32 v3, v36, v5, vcc
	scratch_load_dwordx2 v[0:1], v3, off
	s_waitcnt vmcnt(0)
	ds_bpermute_b32 v0, v54, v0
	ds_bpermute_b32 v1, v54, v1
	s_waitcnt lgkmcnt(0)
	scratch_store_dwordx2 v3, v[0:1], off
	v_mov_b32_e32 v1, 0x1e0
	v_cndmask_b32_e32 v0, v32, v1, vcc
	scratch_load_dwordx2 v[56:57], v0, off
	s_waitcnt vmcnt(0)
	ds_bpermute_b32 v56, v54, v56
	ds_bpermute_b32 v57, v54, v57
	s_waitcnt lgkmcnt(0)
	scratch_store_dwordx2 v0, v[56:57], off
	v_cndmask_b32_e32 v0, v34, v4, vcc
	scratch_load_dwordx2 v[56:57], v0, off
	s_waitcnt vmcnt(0)
	ds_bpermute_b32 v56, v54, v56
	ds_bpermute_b32 v57, v54, v57
	s_waitcnt lgkmcnt(0)
	scratch_store_dwordx2 v0, v[56:57], off
	v_mov_b32_e32 v0, 0x1f0
	v_cndmask_b32_e32 v3, v31, v0, vcc
	scratch_load_dwordx2 v[56:57], v3, off
	s_waitcnt vmcnt(0)
	ds_bpermute_b32 v56, v54, v56
	ds_bpermute_b32 v57, v54, v57
	s_waitcnt lgkmcnt(0)
	scratch_store_dwordx2 v3, v[56:57], off
	scratch_load_dwordx2 v[56:57], v55, off
	v_mov_b32_e32 v3, v58
	s_waitcnt vmcnt(0)
	ds_bpermute_b32 v56, v54, v56
	ds_bpermute_b32 v57, v54, v57
	v_and_b32_e32 v54, 16, v58
	v_cmp_eq_u32_e32 vcc, 0, v54
	v_lshlrev_b32_e32 v54, 3, v54
	s_waitcnt lgkmcnt(0)
	scratch_store_dwordx2 v55, v[56:57], off
	v_xor_b32_e32 v56, 0x80, v54
	scratch_load_dwordx2 v[54:55], v56, off
	s_waitcnt vmcnt(0)
	ds_swizzle_b32 v54, v54 offset:swizzle(SWAP,16)
	ds_swizzle_b32 v55, v55 offset:swizzle(SWAP,16)
	s_waitcnt lgkmcnt(0)
	scratch_store_dwordx2 v56, v[54:55], off
	v_cndmask_b32_e32 v56, 8, v45, vcc
	scratch_load_dwordx2 v[54:55], v56, off
	s_waitcnt vmcnt(0)
	ds_swizzle_b32 v54, v54 offset:swizzle(SWAP,16)
	ds_swizzle_b32 v55, v55 offset:swizzle(SWAP,16)
	s_waitcnt lgkmcnt(0)
	scratch_store_dwordx2 v56, v[54:55], off
	v_cndmask_b32_e32 v56, 16, v46, vcc
	;; [unrolled: 7-line block ×15, first 2 shown]
	scratch_load_dwordx2 v[54:55], v56, off
	s_waitcnt vmcnt(0)
	ds_swizzle_b32 v54, v54 offset:swizzle(SWAP,16)
	ds_swizzle_b32 v55, v55 offset:swizzle(SWAP,16)
	s_waitcnt lgkmcnt(0)
	scratch_store_dwordx2 v56, v[54:55], off
	v_mov_b32_e32 v54, 0x100
	v_cndmask_b32_e32 v55, v54, v14, vcc
	scratch_load_dwordx2 v[56:57], v55, off
	s_waitcnt vmcnt(0)
	ds_swizzle_b32 v56, v56 offset:swizzle(SWAP,16)
	ds_swizzle_b32 v57, v57 offset:swizzle(SWAP,16)
	s_waitcnt lgkmcnt(0)
	scratch_store_dwordx2 v55, v[56:57], off
	v_cndmask_b32_e32 v55, v30, v15, vcc
	scratch_load_dwordx2 v[56:57], v55, off
	s_waitcnt vmcnt(0)
	ds_swizzle_b32 v56, v56 offset:swizzle(SWAP,16)
	ds_swizzle_b32 v57, v57 offset:swizzle(SWAP,16)
	s_waitcnt lgkmcnt(0)
	scratch_store_dwordx2 v55, v[56:57], off
	;; [unrolled: 7-line block ×16, first 2 shown]
	v_and_b32_e32 v55, 8, v58
	v_cmp_eq_u32_e32 vcc, 0, v55
	v_lshlrev_b32_e32 v55, 3, v55
	v_xor_b32_e32 v55, 64, v55
	scratch_load_dwordx2 v[56:57], v55, off
	s_waitcnt vmcnt(0)
	ds_swizzle_b32 v56, v56 offset:swizzle(SWAP,8)
	ds_swizzle_b32 v57, v57 offset:swizzle(SWAP,8)
	s_waitcnt lgkmcnt(0)
	scratch_store_dwordx2 v55, v[56:57], off
	v_cndmask_b32_e32 v55, 8, v37, vcc
	scratch_load_dwordx2 v[56:57], v55, off
	s_waitcnt vmcnt(0)
	ds_swizzle_b32 v56, v56 offset:swizzle(SWAP,8)
	ds_swizzle_b32 v57, v57 offset:swizzle(SWAP,8)
	s_waitcnt lgkmcnt(0)
	scratch_store_dwordx2 v55, v[56:57], off
	v_cndmask_b32_e32 v55, 16, v38, vcc
	;; [unrolled: 7-line block ×31, first 2 shown]
	scratch_load_dwordx2 v[56:57], v55, off
	s_waitcnt vmcnt(0)
	ds_swizzle_b32 v56, v56 offset:swizzle(SWAP,8)
	ds_swizzle_b32 v57, v57 offset:swizzle(SWAP,8)
	s_waitcnt lgkmcnt(0)
	scratch_store_dwordx2 v55, v[56:57], off
	v_and_b32_e32 v55, 4, v58
	v_cmp_eq_u32_e32 vcc, 0, v55
	v_lshlrev_b32_e32 v55, 3, v55
	v_xor_b32_e32 v55, 32, v55
	scratch_load_dwordx2 v[56:57], v55, off
	s_waitcnt vmcnt(0)
	ds_swizzle_b32 v56, v56 offset:swizzle(SWAP,4)
	ds_swizzle_b32 v57, v57 offset:swizzle(SWAP,4)
	s_waitcnt lgkmcnt(0)
	scratch_store_dwordx2 v55, v[56:57], off
	v_cndmask_b32_e64 v55, 8, 40, vcc
	scratch_load_dwordx2 v[56:57], v55, off
	s_waitcnt vmcnt(0)
	ds_swizzle_b32 v56, v56 offset:swizzle(SWAP,4)
	ds_swizzle_b32 v57, v57 offset:swizzle(SWAP,4)
	s_waitcnt lgkmcnt(0)
	scratch_store_dwordx2 v55, v[56:57], off
	v_cndmask_b32_e64 v55, 16, 48, vcc
	;; [unrolled: 7-line block ×3, first 2 shown]
	scratch_load_dwordx2 v[56:57], v55, off
	s_waitcnt vmcnt(0)
	ds_swizzle_b32 v56, v56 offset:swizzle(SWAP,4)
	ds_swizzle_b32 v57, v57 offset:swizzle(SWAP,4)
	s_waitcnt lgkmcnt(0)
	scratch_store_dwordx2 v55, v[56:57], off
	v_cndmask_b32_e32 v55, 64, v40, vcc
	scratch_load_dwordx2 v[56:57], v55, off
	s_waitcnt vmcnt(0)
	ds_swizzle_b32 v56, v56 offset:swizzle(SWAP,4)
	ds_swizzle_b32 v57, v57 offset:swizzle(SWAP,4)
	s_waitcnt lgkmcnt(0)
	scratch_store_dwordx2 v55, v[56:57], off
	v_cndmask_b32_e32 v55, v37, v41, vcc
	;; [unrolled: 7-line block ×28, first 2 shown]
	scratch_load_dwordx2 v[56:57], v55, off
	s_waitcnt vmcnt(0)
	ds_swizzle_b32 v56, v56 offset:swizzle(SWAP,4)
	ds_swizzle_b32 v57, v57 offset:swizzle(SWAP,4)
	s_waitcnt lgkmcnt(0)
	scratch_store_dwordx2 v55, v[56:57], off
	v_and_b32_e32 v55, 2, v58
	v_cmp_eq_u32_e32 vcc, 0, v55
	v_lshlrev_b32_e32 v55, 3, v55
	v_xor_b32_e32 v55, 16, v55
	scratch_load_dwordx2 v[56:57], v55, off
	s_waitcnt vmcnt(0)
	ds_swizzle_b32 v56, v56 offset:swizzle(SWAP,2)
	ds_swizzle_b32 v57, v57 offset:swizzle(SWAP,2)
	s_waitcnt lgkmcnt(0)
	scratch_store_dwordx2 v55, v[56:57], off
	v_cndmask_b32_e64 v55, 8, 24, vcc
	scratch_load_dwordx2 v[56:57], v55, off
	s_waitcnt vmcnt(0)
	ds_swizzle_b32 v56, v56 offset:swizzle(SWAP,2)
	ds_swizzle_b32 v57, v57 offset:swizzle(SWAP,2)
	s_waitcnt lgkmcnt(0)
	scratch_store_dwordx2 v55, v[56:57], off
	v_cndmask_b32_e64 v55, 32, 48, vcc
	;; [unrolled: 7-line block ×3, first 2 shown]
	scratch_load_dwordx2 v[56:57], v55, off
	s_waitcnt vmcnt(0)
	ds_swizzle_b32 v56, v56 offset:swizzle(SWAP,2)
	ds_swizzle_b32 v57, v57 offset:swizzle(SWAP,2)
	s_waitcnt lgkmcnt(0)
	scratch_store_dwordx2 v55, v[56:57], off
	v_cndmask_b32_e32 v55, 64, v38, vcc
	scratch_load_dwordx2 v[56:57], v55, off
	s_waitcnt vmcnt(0)
	ds_swizzle_b32 v56, v56 offset:swizzle(SWAP,2)
	ds_swizzle_b32 v57, v57 offset:swizzle(SWAP,2)
	s_waitcnt lgkmcnt(0)
	scratch_store_dwordx2 v55, v[56:57], off
	v_cndmask_b32_e32 v55, v37, v39, vcc
	;; [unrolled: 7-line block ×28, first 2 shown]
	scratch_load_dwordx2 v[56:57], v55, off
	s_waitcnt vmcnt(0)
	ds_swizzle_b32 v56, v56 offset:swizzle(SWAP,2)
	ds_swizzle_b32 v57, v57 offset:swizzle(SWAP,2)
	s_waitcnt lgkmcnt(0)
	scratch_store_dwordx2 v55, v[56:57], off
	v_and_b32_e32 v55, 1, v58
	v_cmp_eq_u32_e32 vcc, 0, v55
	v_lshlrev_b32_e32 v55, 3, v55
	v_xor_b32_e32 v55, 8, v55
	v_or_b32_e32 v55, 0, v55
	scratch_load_dwordx2 v[56:57], v55, off
	v_cndmask_b32_e32 v37, 64, v37, vcc
	v_cndmask_b32_e32 v35, v35, v36, vcc
	v_cndmask_b32_e32 v32, v32, v34, vcc
	v_cndmask_b32_e32 v31, v31, v33, vcc
	v_cndmask_b32_e32 v27, v27, v29, vcc
	v_cndmask_b32_e32 v24, v24, v26, vcc
	v_cndmask_b32_e32 v17, v17, v20, vcc
	v_cndmask_b32_e32 v19, v16, v19, vcc
	v_cndmask_b32_e32 v18, v18, v21, vcc
	v_cndmask_b32_e32 v9, v9, v11, vcc
	v_cndmask_b32_e32 v10, v8, v10, vcc
	v_cndmask_b32_e32 v2, v2, v5, vcc
	v_cndmask_b32_e32 v1, v1, v4, vcc
	scratch_load_dwordx2 v[4:5], v1, off
	s_waitcnt vmcnt(1)
	ds_swizzle_b32 v56, v56 offset:swizzle(SWAP,1)
	ds_swizzle_b32 v57, v57 offset:swizzle(SWAP,1)
	s_waitcnt lgkmcnt(0)
	scratch_store_dwordx2 v55, v[56:57], off
	v_cndmask_b32_e64 v55, 16, 24, vcc
	scratch_load_dwordx2 v[56:57], v55, off
	s_waitcnt vmcnt(2)
	ds_swizzle_b32 v4, v4 offset:swizzle(SWAP,1)
	ds_swizzle_b32 v5, v5 offset:swizzle(SWAP,1)
	s_waitcnt lgkmcnt(0)
	scratch_store_dwordx2 v1, v[4:5], off
	s_waitcnt vmcnt(1)
	ds_swizzle_b32 v56, v56 offset:swizzle(SWAP,1)
	ds_swizzle_b32 v57, v57 offset:swizzle(SWAP,1)
	s_waitcnt lgkmcnt(0)
	scratch_store_dwordx2 v55, v[56:57], off
	v_cndmask_b32_e64 v55, 32, 40, vcc
	scratch_load_dwordx2 v[56:57], v55, off
	s_waitcnt vmcnt(0)
	ds_swizzle_b32 v56, v56 offset:swizzle(SWAP,1)
	ds_swizzle_b32 v57, v57 offset:swizzle(SWAP,1)
	s_waitcnt lgkmcnt(0)
	scratch_store_dwordx2 v55, v[56:57], off
	v_cndmask_b32_e64 v55, 48, 56, vcc
	scratch_load_dwordx2 v[56:57], v55, off
	s_waitcnt vmcnt(0)
	ds_swizzle_b32 v56, v56 offset:swizzle(SWAP,1)
	ds_swizzle_b32 v57, v57 offset:swizzle(SWAP,1)
	s_waitcnt lgkmcnt(0)
	scratch_store_dwordx2 v55, v[56:57], off
	scratch_load_dwordx2 v[56:57], v37, off
	s_waitcnt vmcnt(0)
	ds_swizzle_b32 v56, v56 offset:swizzle(SWAP,1)
	ds_swizzle_b32 v57, v57 offset:swizzle(SWAP,1)
	s_waitcnt lgkmcnt(0)
	scratch_store_dwordx2 v37, v[56:57], off
	v_cndmask_b32_e32 v37, v38, v39, vcc
	scratch_load_dwordx2 v[38:39], v37, off
	s_waitcnt vmcnt(0)
	ds_swizzle_b32 v38, v38 offset:swizzle(SWAP,1)
	ds_swizzle_b32 v39, v39 offset:swizzle(SWAP,1)
	s_waitcnt lgkmcnt(0)
	scratch_store_dwordx2 v37, v[38:39], off
	v_cndmask_b32_e32 v37, v40, v41, vcc
	;; [unrolled: 7-line block ×8, first 2 shown]
	scratch_load_dwordx2 v[38:39], v37, off
	s_waitcnt vmcnt(0)
	ds_swizzle_b32 v38, v38 offset:swizzle(SWAP,1)
	ds_swizzle_b32 v39, v39 offset:swizzle(SWAP,1)
	s_waitcnt lgkmcnt(0)
	scratch_store_dwordx2 v37, v[38:39], off
	scratch_load_dwordx2 v[36:37], v35, off
	s_waitcnt vmcnt(0)
	ds_swizzle_b32 v36, v36 offset:swizzle(SWAP,1)
	ds_swizzle_b32 v37, v37 offset:swizzle(SWAP,1)
	s_waitcnt lgkmcnt(0)
	scratch_store_dwordx2 v35, v[36:37], off
	;; [unrolled: 6-line block ×4, first 2 shown]
	v_cndmask_b32_e32 v32, v54, v30, vcc
	scratch_load_dwordx2 v[30:31], v32, off
	s_waitcnt vmcnt(0)
	ds_swizzle_b32 v30, v30 offset:swizzle(SWAP,1)
	ds_swizzle_b32 v31, v31 offset:swizzle(SWAP,1)
	s_waitcnt lgkmcnt(0)
	scratch_store_dwordx2 v32, v[30:31], off
	scratch_load_dwordx2 v[30:31], v27, off
	s_waitcnt vmcnt(0)
	ds_swizzle_b32 v30, v30 offset:swizzle(SWAP,1)
	ds_swizzle_b32 v31, v31 offset:swizzle(SWAP,1)
	s_waitcnt lgkmcnt(0)
	scratch_store_dwordx2 v27, v[30:31], off
	;; [unrolled: 6-line block ×3, first 2 shown]
	v_cndmask_b32_e32 v26, v25, v28, vcc
	scratch_load_dwordx2 v[24:25], v26, off
	s_waitcnt vmcnt(0)
	ds_swizzle_b32 v24, v24 offset:swizzle(SWAP,1)
	ds_swizzle_b32 v25, v25 offset:swizzle(SWAP,1)
	s_waitcnt lgkmcnt(0)
	scratch_store_dwordx2 v26, v[24:25], off
	v_cndmask_b32_e32 v24, v22, v23, vcc
	scratch_load_dwordx2 v[22:23], v24, off
	s_waitcnt vmcnt(0)
	ds_swizzle_b32 v22, v22 offset:swizzle(SWAP,1)
	ds_swizzle_b32 v23, v23 offset:swizzle(SWAP,1)
	s_waitcnt lgkmcnt(0)
	scratch_store_dwordx2 v24, v[22:23], off
	scratch_load_dwordx2 v[22:23], v17, off
	s_waitcnt vmcnt(0)
	ds_swizzle_b32 v22, v22 offset:swizzle(SWAP,1)
	ds_swizzle_b32 v23, v23 offset:swizzle(SWAP,1)
	s_waitcnt lgkmcnt(0)
	scratch_store_dwordx2 v17, v[22:23], off
	;; [unrolled: 6-line block ×4, first 2 shown]
	v_cndmask_b32_e32 v16, v14, v15, vcc
	scratch_load_dwordx2 v[14:15], v16, off
	s_waitcnt vmcnt(0)
	ds_swizzle_b32 v14, v14 offset:swizzle(SWAP,1)
	ds_swizzle_b32 v15, v15 offset:swizzle(SWAP,1)
	s_waitcnt lgkmcnt(0)
	scratch_store_dwordx2 v16, v[14:15], off
	v_cndmask_b32_e32 v14, v12, v13, vcc
	scratch_load_dwordx2 v[12:13], v14, off
	s_waitcnt vmcnt(0)
	ds_swizzle_b32 v12, v12 offset:swizzle(SWAP,1)
	ds_swizzle_b32 v13, v13 offset:swizzle(SWAP,1)
	s_waitcnt lgkmcnt(0)
	scratch_store_dwordx2 v14, v[12:13], off
	scratch_load_dwordx2 v[12:13], v9, off
	s_waitcnt vmcnt(0)
	ds_swizzle_b32 v12, v12 offset:swizzle(SWAP,1)
	ds_swizzle_b32 v13, v13 offset:swizzle(SWAP,1)
	s_waitcnt lgkmcnt(0)
	scratch_store_dwordx2 v9, v[12:13], off
	;; [unrolled: 6-line block ×3, first 2 shown]
	v_cndmask_b32_e32 v8, v6, v7, vcc
	scratch_load_dwordx2 v[6:7], v8, off
	s_waitcnt vmcnt(0)
	ds_swizzle_b32 v6, v6 offset:swizzle(SWAP,1)
	ds_swizzle_b32 v7, v7 offset:swizzle(SWAP,1)
	s_waitcnt lgkmcnt(0)
	scratch_store_dwordx2 v8, v[6:7], off
	scratch_load_dwordx2 v[6:7], v2, off
	s_waitcnt vmcnt(0)
	ds_swizzle_b32 v6, v6 offset:swizzle(SWAP,1)
	ds_swizzle_b32 v7, v7 offset:swizzle(SWAP,1)
	s_waitcnt lgkmcnt(0)
	scratch_store_dwordx2 v2, v[6:7], off
	v_cndmask_b32_e32 v2, v0, v59, vcc
	scratch_load_dwordx2 v[0:1], v2, off
	s_waitcnt vmcnt(0)
	ds_swizzle_b32 v0, v0 offset:swizzle(SWAP,1)
	ds_swizzle_b32 v1, v1 offset:swizzle(SWAP,1)
	s_waitcnt lgkmcnt(0)
	scratch_store_dwordx2 v2, v[0:1], off
	scratch_load_dwordx4 v[44:47], off, off
	scratch_load_dwordx4 v[52:55], off, off offset:16
	scratch_load_dwordx4 v[48:51], off, off offset:32
	;; [unrolled: 1-line block ×13, first 2 shown]
	s_waitcnt vmcnt(0)
	scratch_store_dwordx4 off, v[56:59], off offset:512 ; 16-byte Folded Spill
	scratch_load_dwordx4 v[56:59], off, off offset:224
	s_nop 0
	scratch_load_dwordx4 v[60:63], off, off offset:240
	scratch_load_dwordx4 v[64:67], off, off offset:256
	;; [unrolled: 1-line block ×17, first 2 shown]
	s_cbranch_execz .LBB7_3
	s_branch .LBB7_4
.LBB7_2:
	v_mov_b32_e32 v3, v58
                                        ; implicit-def: $vgpr122_vgpr123
                                        ; implicit-def: $vgpr126_vgpr127
                                        ; implicit-def: $vgpr118_vgpr119
                                        ; implicit-def: $vgpr114_vgpr115
                                        ; implicit-def: $vgpr110_vgpr111
                                        ; implicit-def: $vgpr106_vgpr107
                                        ; implicit-def: $vgpr102_vgpr103
                                        ; implicit-def: $vgpr98_vgpr99
                                        ; implicit-def: $vgpr94_vgpr95
                                        ; implicit-def: $vgpr90_vgpr91
                                        ; implicit-def: $vgpr86_vgpr87
                                        ; implicit-def: $vgpr82_vgpr83
                                        ; implicit-def: $vgpr78_vgpr79
                                        ; implicit-def: $vgpr74_vgpr75
                                        ; implicit-def: $vgpr70_vgpr71
                                        ; implicit-def: $vgpr66_vgpr67
                                        ; implicit-def: $vgpr62_vgpr63
                                        ; implicit-def: $vgpr58_vgpr59
                                        ; implicit-def: $vgpr4_vgpr5
	scratch_store_dwordx4 off, v[2:5], off offset:512 ; 16-byte Folded Spill
                                        ; implicit-def: $vgpr6_vgpr7
                                        ; implicit-def: $vgpr10_vgpr11
                                        ; implicit-def: $vgpr14_vgpr15
                                        ; implicit-def: $vgpr18_vgpr19
                                        ; implicit-def: $vgpr22_vgpr23
                                        ; implicit-def: $vgpr26_vgpr27
                                        ; implicit-def: $vgpr30_vgpr31
                                        ; implicit-def: $vgpr34_vgpr35
                                        ; implicit-def: $vgpr38_vgpr39
                                        ; implicit-def: $vgpr42_vgpr43
                                        ; implicit-def: $vgpr50_vgpr51
                                        ; implicit-def: $vgpr54_vgpr55
                                        ; implicit-def: $vgpr46_vgpr47
.LBB7_3:
	scratch_load_dwordx4 v[4:7], off, off offset:1028 ; 16-byte Folded Reload
	s_waitcnt vmcnt(18)
	v_mov_b32_e32 v58, v3
	v_and_b32_e32 v0, 32, v58
	v_cmp_eq_u32_e32 vcc, 0, v0
	v_lshlrev_b32_e32 v0, 3, v0
	v_xor_b32_e32 v2, 0x100, v0
	v_xor_b32_e32 v3, 32, v58
	v_mov_b32_e32 v12, 0x108
	v_mov_b32_e32 v8, 0x128
	;; [unrolled: 1-line block ×45, first 2 shown]
	s_waitcnt vmcnt(0)
	scratch_store_dwordx4 off, v[4:7], off
	scratch_load_dwordx4 v[4:7], off, off offset:1012 ; 16-byte Folded Reload
	s_waitcnt vmcnt(0)
	scratch_store_dwordx4 off, v[4:7], off offset:16
	scratch_load_dwordx4 v[4:7], off, off offset:996 ; 16-byte Folded Reload
	s_waitcnt vmcnt(0)
	scratch_store_dwordx4 off, v[4:7], off offset:32
	;; [unrolled: 3-line block ×16, first 2 shown]
	scratch_load_dwordx4 v[4:7], off, off offset:772 ; 16-byte Folded Reload
	s_nop 0
	scratch_load_dwordx2 v[0:1], v2, off
	s_waitcnt vmcnt(1)
	scratch_store_dwordx4 off, v[4:7], off offset:272
	scratch_load_dwordx4 v[4:7], off, off offset:708 ; 16-byte Folded Reload
	s_waitcnt vmcnt(0)
	scratch_store_dwordx4 off, v[4:7], off offset:288
	scratch_load_dwordx4 v[4:7], off, off offset:628 ; 16-byte Folded Reload
	;; [unrolled: 3-line block ×14, first 2 shown]
	s_waitcnt vmcnt(0)
	scratch_store_dwordx4 off, v[4:7], off offset:496
	s_nop 1
	v_and_b32_e32 v4, 64, v58
	v_add_u32_e32 v4, 64, v4
	v_cmp_lt_i32_e64 s[0:1], v3, v4
	v_mov_b32_e32 v7, 0x118
	v_mov_b32_e32 v5, 0x120
	v_cndmask_b32_e64 v3, v58, v3, s[0:1]
	v_lshlrev_b32_e32 v54, 2, v3
	ds_bpermute_b32 v0, v54, v0
	ds_bpermute_b32 v1, v54, v1
	v_mov_b32_e32 v3, 0x110
	v_mov_b32_e32 v6, 0x130
	s_waitcnt lgkmcnt(0)
	scratch_store_dwordx2 v2, v[0:1], off
	v_cndmask_b32_e32 v2, 8, v12, vcc
	scratch_load_dwordx2 v[0:1], v2, off
	s_waitcnt vmcnt(0)
	ds_bpermute_b32 v0, v54, v0
	ds_bpermute_b32 v1, v54, v1
	s_waitcnt lgkmcnt(0)
	scratch_store_dwordx2 v2, v[0:1], off
	v_cndmask_b32_e32 v2, 16, v3, vcc
	scratch_load_dwordx2 v[0:1], v2, off
	s_waitcnt vmcnt(0)
	ds_bpermute_b32 v0, v54, v0
	ds_bpermute_b32 v1, v54, v1
	;; [unrolled: 7-line block ×27, first 2 shown]
	s_waitcnt lgkmcnt(0)
	scratch_store_dwordx2 v2, v[0:1], off
	v_mov_b32_e32 v2, 0x1e0
	v_cndmask_b32_e32 v4, v33, v2, vcc
	scratch_load_dwordx2 v[0:1], v4, off
	s_waitcnt vmcnt(0)
	ds_bpermute_b32 v0, v54, v0
	ds_bpermute_b32 v1, v54, v1
	s_waitcnt lgkmcnt(0)
	scratch_store_dwordx2 v4, v[0:1], off
	v_mov_b32_e32 v4, 0x1e8
	v_cndmask_b32_e32 v31, v34, v4, vcc
	scratch_load_dwordx2 v[0:1], v31, off
	s_waitcnt vmcnt(0)
	ds_bpermute_b32 v0, v54, v0
	ds_bpermute_b32 v1, v54, v1
	s_waitcnt lgkmcnt(0)
	scratch_store_dwordx2 v31, v[0:1], off
	v_mov_b32_e32 v31, 0xf0
	v_mov_b32_e32 v0, 0x1f0
	v_cndmask_b32_e32 v1, v31, v0, vcc
	scratch_load_dwordx2 v[56:57], v1, off
	s_waitcnt vmcnt(0)
	ds_bpermute_b32 v56, v54, v56
	ds_bpermute_b32 v57, v54, v57
	s_waitcnt lgkmcnt(0)
	scratch_store_dwordx2 v1, v[56:57], off
	v_mov_b32_e32 v1, 0x1f8
	v_cndmask_b32_e32 v55, v32, v1, vcc
	scratch_load_dwordx2 v[56:57], v55, off
	s_waitcnt vmcnt(0)
	ds_bpermute_b32 v56, v54, v56
	ds_bpermute_b32 v57, v54, v57
	v_and_b32_e32 v54, 16, v58
	v_cmp_eq_u32_e32 vcc, 0, v54
	v_lshlrev_b32_e32 v54, 3, v54
	s_waitcnt lgkmcnt(0)
	scratch_store_dwordx2 v55, v[56:57], off
	v_xor_b32_e32 v56, 0x80, v54
	scratch_load_dwordx2 v[54:55], v56, off
	s_waitcnt vmcnt(0)
	ds_swizzle_b32 v54, v54 offset:swizzle(SWAP,16)
	ds_swizzle_b32 v55, v55 offset:swizzle(SWAP,16)
	s_waitcnt lgkmcnt(0)
	scratch_store_dwordx2 v56, v[54:55], off
	v_cndmask_b32_e32 v56, 8, v39, vcc
	scratch_load_dwordx2 v[54:55], v56, off
	s_waitcnt vmcnt(0)
	ds_swizzle_b32 v54, v54 offset:swizzle(SWAP,16)
	ds_swizzle_b32 v55, v55 offset:swizzle(SWAP,16)
	s_waitcnt lgkmcnt(0)
	scratch_store_dwordx2 v56, v[54:55], off
	v_cndmask_b32_e32 v56, 16, v40, vcc
	;; [unrolled: 7-line block ×15, first 2 shown]
	scratch_load_dwordx2 v[54:55], v56, off
	s_waitcnt vmcnt(0)
	ds_swizzle_b32 v54, v54 offset:swizzle(SWAP,16)
	ds_swizzle_b32 v55, v55 offset:swizzle(SWAP,16)
	s_waitcnt lgkmcnt(0)
	scratch_store_dwordx2 v56, v[54:55], off
	v_mov_b32_e32 v54, 0x100
	v_cndmask_b32_e32 v55, v54, v25, vcc
	scratch_load_dwordx2 v[56:57], v55, off
	s_waitcnt vmcnt(0)
	ds_swizzle_b32 v56, v56 offset:swizzle(SWAP,16)
	ds_swizzle_b32 v57, v57 offset:swizzle(SWAP,16)
	s_waitcnt lgkmcnt(0)
	scratch_store_dwordx2 v55, v[56:57], off
	v_cndmask_b32_e32 v55, v12, v30, vcc
	scratch_load_dwordx2 v[56:57], v55, off
	s_waitcnt vmcnt(0)
	ds_swizzle_b32 v56, v56 offset:swizzle(SWAP,16)
	ds_swizzle_b32 v57, v57 offset:swizzle(SWAP,16)
	s_waitcnt lgkmcnt(0)
	scratch_store_dwordx2 v55, v[56:57], off
	;; [unrolled: 7-line block ×16, first 2 shown]
	v_and_b32_e32 v55, 8, v58
	v_cmp_eq_u32_e32 vcc, 0, v55
	v_lshlrev_b32_e32 v55, 3, v55
	v_xor_b32_e32 v55, 64, v55
	scratch_load_dwordx2 v[56:57], v55, off
	s_waitcnt vmcnt(0)
	ds_swizzle_b32 v56, v56 offset:swizzle(SWAP,8)
	ds_swizzle_b32 v57, v57 offset:swizzle(SWAP,8)
	s_waitcnt lgkmcnt(0)
	scratch_store_dwordx2 v55, v[56:57], off
	v_cndmask_b32_e32 v55, 8, v53, vcc
	scratch_load_dwordx2 v[56:57], v55, off
	s_waitcnt vmcnt(0)
	ds_swizzle_b32 v56, v56 offset:swizzle(SWAP,8)
	ds_swizzle_b32 v57, v57 offset:swizzle(SWAP,8)
	s_waitcnt lgkmcnt(0)
	scratch_store_dwordx2 v55, v[56:57], off
	v_cndmask_b32_e32 v55, 16, v50, vcc
	;; [unrolled: 7-line block ×31, first 2 shown]
	scratch_load_dwordx2 v[56:57], v55, off
	s_waitcnt vmcnt(0)
	ds_swizzle_b32 v56, v56 offset:swizzle(SWAP,8)
	ds_swizzle_b32 v57, v57 offset:swizzle(SWAP,8)
	s_waitcnt lgkmcnt(0)
	scratch_store_dwordx2 v55, v[56:57], off
	v_and_b32_e32 v55, 4, v58
	v_cmp_eq_u32_e32 vcc, 0, v55
	v_lshlrev_b32_e32 v55, 3, v55
	v_xor_b32_e32 v55, 32, v55
	scratch_load_dwordx2 v[56:57], v55, off
	s_waitcnt vmcnt(0)
	ds_swizzle_b32 v56, v56 offset:swizzle(SWAP,4)
	ds_swizzle_b32 v57, v57 offset:swizzle(SWAP,4)
	s_waitcnt lgkmcnt(0)
	scratch_store_dwordx2 v55, v[56:57], off
	v_cndmask_b32_e64 v55, 8, 40, vcc
	scratch_load_dwordx2 v[56:57], v55, off
	s_waitcnt vmcnt(0)
	ds_swizzle_b32 v56, v56 offset:swizzle(SWAP,4)
	ds_swizzle_b32 v57, v57 offset:swizzle(SWAP,4)
	s_waitcnt lgkmcnt(0)
	scratch_store_dwordx2 v55, v[56:57], off
	v_cndmask_b32_e64 v55, 16, 48, vcc
	;; [unrolled: 7-line block ×3, first 2 shown]
	scratch_load_dwordx2 v[56:57], v55, off
	s_waitcnt vmcnt(0)
	ds_swizzle_b32 v56, v56 offset:swizzle(SWAP,4)
	ds_swizzle_b32 v57, v57 offset:swizzle(SWAP,4)
	s_waitcnt lgkmcnt(0)
	scratch_store_dwordx2 v55, v[56:57], off
	v_cndmask_b32_e32 v55, 64, v44, vcc
	scratch_load_dwordx2 v[56:57], v55, off
	s_waitcnt vmcnt(0)
	ds_swizzle_b32 v56, v56 offset:swizzle(SWAP,4)
	ds_swizzle_b32 v57, v57 offset:swizzle(SWAP,4)
	s_waitcnt lgkmcnt(0)
	scratch_store_dwordx2 v55, v[56:57], off
	v_cndmask_b32_e32 v55, v53, v49, vcc
	;; [unrolled: 7-line block ×28, first 2 shown]
	scratch_load_dwordx2 v[56:57], v55, off
	s_waitcnt vmcnt(0)
	ds_swizzle_b32 v56, v56 offset:swizzle(SWAP,4)
	ds_swizzle_b32 v57, v57 offset:swizzle(SWAP,4)
	s_waitcnt lgkmcnt(0)
	scratch_store_dwordx2 v55, v[56:57], off
	v_and_b32_e32 v55, 2, v58
	v_cmp_eq_u32_e32 vcc, 0, v55
	v_lshlrev_b32_e32 v55, 3, v55
	v_xor_b32_e32 v55, 16, v55
	scratch_load_dwordx2 v[56:57], v55, off
	s_waitcnt vmcnt(0)
	ds_swizzle_b32 v56, v56 offset:swizzle(SWAP,2)
	ds_swizzle_b32 v57, v57 offset:swizzle(SWAP,2)
	s_waitcnt lgkmcnt(0)
	scratch_store_dwordx2 v55, v[56:57], off
	v_cndmask_b32_e64 v55, 8, 24, vcc
	scratch_load_dwordx2 v[56:57], v55, off
	s_waitcnt vmcnt(0)
	ds_swizzle_b32 v56, v56 offset:swizzle(SWAP,2)
	ds_swizzle_b32 v57, v57 offset:swizzle(SWAP,2)
	s_waitcnt lgkmcnt(0)
	scratch_store_dwordx2 v55, v[56:57], off
	v_cndmask_b32_e64 v55, 32, 48, vcc
	;; [unrolled: 7-line block ×3, first 2 shown]
	scratch_load_dwordx2 v[56:57], v55, off
	s_waitcnt vmcnt(0)
	ds_swizzle_b32 v56, v56 offset:swizzle(SWAP,2)
	ds_swizzle_b32 v57, v57 offset:swizzle(SWAP,2)
	s_waitcnt lgkmcnt(0)
	scratch_store_dwordx2 v55, v[56:57], off
	v_cndmask_b32_e32 v55, 64, v50, vcc
	scratch_load_dwordx2 v[56:57], v55, off
	s_waitcnt vmcnt(0)
	ds_swizzle_b32 v56, v56 offset:swizzle(SWAP,2)
	ds_swizzle_b32 v57, v57 offset:swizzle(SWAP,2)
	s_waitcnt lgkmcnt(0)
	scratch_store_dwordx2 v55, v[56:57], off
	v_cndmask_b32_e32 v55, v53, v52, vcc
	scratch_load_dwordx2 v[56:57], v55, off
	s_waitcnt vmcnt(0)
	ds_swizzle_b32 v56, v56 offset:swizzle(SWAP,2)
	ds_swizzle_b32 v57, v57 offset:swizzle(SWAP,2)
	s_waitcnt lgkmcnt(0)
	scratch_store_dwordx2 v55, v[56:57], off
	v_cndmask_b32_e32 v55, v44, v38, vcc
	scratch_load_dwordx2 v[56:57], v55, off
	s_waitcnt vmcnt(0)
	ds_swizzle_b32 v56, v56 offset:swizzle(SWAP,2)
	ds_swizzle_b32 v57, v57 offset:swizzle(SWAP,2)
	s_waitcnt lgkmcnt(0)
	scratch_store_dwordx2 v55, v[56:57], off
	v_cndmask_b32_e32 v55, v49, v43, vcc
	scratch_load_dwordx2 v[56:57], v55, off
	s_waitcnt vmcnt(0)
	ds_swizzle_b32 v56, v56 offset:swizzle(SWAP,2)
	ds_swizzle_b32 v57, v57 offset:swizzle(SWAP,2)
	s_waitcnt lgkmcnt(0)
	scratch_store_dwordx2 v55, v[56:57], off
	v_cndmask_b32_e32 v55, v37, v40, vcc
	scratch_load_dwordx2 v[56:57], v55, off
	s_waitcnt vmcnt(0)
	ds_swizzle_b32 v56, v56 offset:swizzle(SWAP,2)
	ds_swizzle_b32 v57, v57 offset:swizzle(SWAP,2)
	s_waitcnt lgkmcnt(0)
	scratch_store_dwordx2 v55, v[56:57], off
	v_cndmask_b32_e32 v55, v39, v41, vcc
	scratch_load_dwordx2 v[56:57], v55, off
	s_waitcnt vmcnt(0)
	ds_swizzle_b32 v56, v56 offset:swizzle(SWAP,2)
	ds_swizzle_b32 v57, v57 offset:swizzle(SWAP,2)
	s_waitcnt lgkmcnt(0)
	scratch_store_dwordx2 v55, v[56:57], off
	v_cndmask_b32_e32 v55, v42, v46, vcc
	scratch_load_dwordx2 v[56:57], v55, off
	s_waitcnt vmcnt(0)
	ds_swizzle_b32 v56, v56 offset:swizzle(SWAP,2)
	ds_swizzle_b32 v57, v57 offset:swizzle(SWAP,2)
	s_waitcnt lgkmcnt(0)
	scratch_store_dwordx2 v55, v[56:57], off
	v_cndmask_b32_e32 v55, v45, v47, vcc
	scratch_load_dwordx2 v[56:57], v55, off
	s_waitcnt vmcnt(0)
	ds_swizzle_b32 v56, v56 offset:swizzle(SWAP,2)
	ds_swizzle_b32 v57, v57 offset:swizzle(SWAP,2)
	s_waitcnt lgkmcnt(0)
	scratch_store_dwordx2 v55, v[56:57], off
	v_cndmask_b32_e32 v55, v48, v35, vcc
	scratch_load_dwordx2 v[56:57], v55, off
	s_waitcnt vmcnt(0)
	ds_swizzle_b32 v56, v56 offset:swizzle(SWAP,2)
	ds_swizzle_b32 v57, v57 offset:swizzle(SWAP,2)
	s_waitcnt lgkmcnt(0)
	scratch_store_dwordx2 v55, v[56:57], off
	v_cndmask_b32_e32 v55, v51, v36, vcc
	scratch_load_dwordx2 v[56:57], v55, off
	s_waitcnt vmcnt(0)
	ds_swizzle_b32 v56, v56 offset:swizzle(SWAP,2)
	ds_swizzle_b32 v57, v57 offset:swizzle(SWAP,2)
	s_waitcnt lgkmcnt(0)
	scratch_store_dwordx2 v55, v[56:57], off
	v_cndmask_b32_e32 v55, v33, v31, vcc
	scratch_load_dwordx2 v[56:57], v55, off
	s_waitcnt vmcnt(0)
	ds_swizzle_b32 v56, v56 offset:swizzle(SWAP,2)
	ds_swizzle_b32 v57, v57 offset:swizzle(SWAP,2)
	s_waitcnt lgkmcnt(0)
	scratch_store_dwordx2 v55, v[56:57], off
	v_cndmask_b32_e32 v55, v34, v32, vcc
	scratch_load_dwordx2 v[56:57], v55, off
	s_waitcnt vmcnt(0)
	ds_swizzle_b32 v56, v56 offset:swizzle(SWAP,2)
	ds_swizzle_b32 v57, v57 offset:swizzle(SWAP,2)
	s_waitcnt lgkmcnt(0)
	scratch_store_dwordx2 v55, v[56:57], off
	v_cndmask_b32_e32 v55, v54, v3, vcc
	scratch_load_dwordx2 v[56:57], v55, off
	s_waitcnt vmcnt(0)
	ds_swizzle_b32 v56, v56 offset:swizzle(SWAP,2)
	ds_swizzle_b32 v57, v57 offset:swizzle(SWAP,2)
	s_waitcnt lgkmcnt(0)
	scratch_store_dwordx2 v55, v[56:57], off
	v_cndmask_b32_e32 v55, v12, v7, vcc
	scratch_load_dwordx2 v[56:57], v55, off
	s_waitcnt vmcnt(0)
	ds_swizzle_b32 v56, v56 offset:swizzle(SWAP,2)
	ds_swizzle_b32 v57, v57 offset:swizzle(SWAP,2)
	s_waitcnt lgkmcnt(0)
	scratch_store_dwordx2 v55, v[56:57], off
	v_cndmask_b32_e32 v55, v5, v6, vcc
	scratch_load_dwordx2 v[56:57], v55, off
	s_waitcnt vmcnt(0)
	ds_swizzle_b32 v56, v56 offset:swizzle(SWAP,2)
	ds_swizzle_b32 v57, v57 offset:swizzle(SWAP,2)
	s_waitcnt lgkmcnt(0)
	scratch_store_dwordx2 v55, v[56:57], off
	v_cndmask_b32_e32 v55, v8, v11, vcc
	scratch_load_dwordx2 v[56:57], v55, off
	s_waitcnt vmcnt(0)
	ds_swizzle_b32 v56, v56 offset:swizzle(SWAP,2)
	ds_swizzle_b32 v57, v57 offset:swizzle(SWAP,2)
	s_waitcnt lgkmcnt(0)
	scratch_store_dwordx2 v55, v[56:57], off
	v_cndmask_b32_e32 v55, v9, v13, vcc
	scratch_load_dwordx2 v[56:57], v55, off
	s_waitcnt vmcnt(0)
	ds_swizzle_b32 v56, v56 offset:swizzle(SWAP,2)
	ds_swizzle_b32 v57, v57 offset:swizzle(SWAP,2)
	s_waitcnt lgkmcnt(0)
	scratch_store_dwordx2 v55, v[56:57], off
	v_cndmask_b32_e32 v55, v16, v20, vcc
	scratch_load_dwordx2 v[56:57], v55, off
	s_waitcnt vmcnt(0)
	ds_swizzle_b32 v56, v56 offset:swizzle(SWAP,2)
	ds_swizzle_b32 v57, v57 offset:swizzle(SWAP,2)
	s_waitcnt lgkmcnt(0)
	scratch_store_dwordx2 v55, v[56:57], off
	v_cndmask_b32_e32 v55, v18, v21, vcc
	scratch_load_dwordx2 v[56:57], v55, off
	s_waitcnt vmcnt(0)
	ds_swizzle_b32 v56, v56 offset:swizzle(SWAP,2)
	ds_swizzle_b32 v57, v57 offset:swizzle(SWAP,2)
	s_waitcnt lgkmcnt(0)
	scratch_store_dwordx2 v55, v[56:57], off
	v_cndmask_b32_e32 v55, v24, v28, vcc
	scratch_load_dwordx2 v[56:57], v55, off
	s_waitcnt vmcnt(0)
	ds_swizzle_b32 v56, v56 offset:swizzle(SWAP,2)
	ds_swizzle_b32 v57, v57 offset:swizzle(SWAP,2)
	s_waitcnt lgkmcnt(0)
	scratch_store_dwordx2 v55, v[56:57], off
	v_cndmask_b32_e32 v55, v25, v27, vcc
	scratch_load_dwordx2 v[56:57], v55, off
	s_waitcnt vmcnt(0)
	ds_swizzle_b32 v56, v56 offset:swizzle(SWAP,2)
	ds_swizzle_b32 v57, v57 offset:swizzle(SWAP,2)
	s_waitcnt lgkmcnt(0)
	scratch_store_dwordx2 v55, v[56:57], off
	v_cndmask_b32_e32 v55, v30, v29, vcc
	scratch_load_dwordx2 v[56:57], v55, off
	s_waitcnt vmcnt(0)
	ds_swizzle_b32 v56, v56 offset:swizzle(SWAP,2)
	ds_swizzle_b32 v57, v57 offset:swizzle(SWAP,2)
	s_waitcnt lgkmcnt(0)
	scratch_store_dwordx2 v55, v[56:57], off
	v_cndmask_b32_e32 v55, v23, v19, vcc
	scratch_load_dwordx2 v[56:57], v55, off
	s_waitcnt vmcnt(0)
	ds_swizzle_b32 v56, v56 offset:swizzle(SWAP,2)
	ds_swizzle_b32 v57, v57 offset:swizzle(SWAP,2)
	s_waitcnt lgkmcnt(0)
	scratch_store_dwordx2 v55, v[56:57], off
	v_cndmask_b32_e32 v55, v26, v22, vcc
	scratch_load_dwordx2 v[56:57], v55, off
	s_waitcnt vmcnt(0)
	ds_swizzle_b32 v56, v56 offset:swizzle(SWAP,2)
	ds_swizzle_b32 v57, v57 offset:swizzle(SWAP,2)
	s_waitcnt lgkmcnt(0)
	scratch_store_dwordx2 v55, v[56:57], off
	v_cndmask_b32_e32 v55, v14, v10, vcc
	scratch_load_dwordx2 v[56:57], v55, off
	s_waitcnt vmcnt(0)
	ds_swizzle_b32 v56, v56 offset:swizzle(SWAP,2)
	ds_swizzle_b32 v57, v57 offset:swizzle(SWAP,2)
	s_waitcnt lgkmcnt(0)
	scratch_store_dwordx2 v55, v[56:57], off
	v_cndmask_b32_e32 v55, v17, v15, vcc
	scratch_load_dwordx2 v[56:57], v55, off
	s_waitcnt vmcnt(0)
	ds_swizzle_b32 v56, v56 offset:swizzle(SWAP,2)
	ds_swizzle_b32 v57, v57 offset:swizzle(SWAP,2)
	s_waitcnt lgkmcnt(0)
	scratch_store_dwordx2 v55, v[56:57], off
	v_cndmask_b32_e32 v55, v2, v0, vcc
	scratch_load_dwordx2 v[56:57], v55, off
	s_waitcnt vmcnt(0)
	ds_swizzle_b32 v56, v56 offset:swizzle(SWAP,2)
	ds_swizzle_b32 v57, v57 offset:swizzle(SWAP,2)
	s_waitcnt lgkmcnt(0)
	scratch_store_dwordx2 v55, v[56:57], off
	v_cndmask_b32_e32 v55, v4, v1, vcc
	scratch_load_dwordx2 v[56:57], v55, off
	s_waitcnt vmcnt(0)
	ds_swizzle_b32 v56, v56 offset:swizzle(SWAP,2)
	ds_swizzle_b32 v57, v57 offset:swizzle(SWAP,2)
	s_waitcnt lgkmcnt(0)
	scratch_store_dwordx2 v55, v[56:57], off
	v_and_b32_e32 v55, 1, v58
	v_cmp_eq_u32_e32 vcc, 0, v55
	v_lshlrev_b32_e32 v55, 3, v55
	v_xor_b32_e32 v55, 8, v55
	v_or_b32_e32 v55, 0, v55
	scratch_load_dwordx2 v[56:57], v55, off
	v_cndmask_b32_e32 v53, 64, v53, vcc
	v_cndmask_b32_e32 v50, v50, v52, vcc
	;; [unrolled: 1-line block ×11, first 2 shown]
	s_waitcnt vmcnt(0)
	ds_swizzle_b32 v56, v56 offset:swizzle(SWAP,1)
	ds_swizzle_b32 v57, v57 offset:swizzle(SWAP,1)
	s_waitcnt lgkmcnt(0)
	scratch_store_dwordx2 v55, v[56:57], off
	v_cndmask_b32_e64 v55, 16, 24, vcc
	scratch_load_dwordx2 v[56:57], v55, off
	s_waitcnt vmcnt(0)
	ds_swizzle_b32 v56, v56 offset:swizzle(SWAP,1)
	ds_swizzle_b32 v57, v57 offset:swizzle(SWAP,1)
	s_waitcnt lgkmcnt(0)
	scratch_store_dwordx2 v55, v[56:57], off
	v_cndmask_b32_e64 v55, 32, 40, vcc
	scratch_load_dwordx2 v[56:57], v55, off
	;; [unrolled: 7-line block ×3, first 2 shown]
	s_waitcnt vmcnt(0)
	ds_swizzle_b32 v56, v56 offset:swizzle(SWAP,1)
	ds_swizzle_b32 v57, v57 offset:swizzle(SWAP,1)
	s_waitcnt lgkmcnt(0)
	scratch_store_dwordx2 v55, v[56:57], off
	scratch_load_dwordx2 v[56:57], v53, off
	s_waitcnt vmcnt(0)
	ds_swizzle_b32 v56, v56 offset:swizzle(SWAP,1)
	ds_swizzle_b32 v57, v57 offset:swizzle(SWAP,1)
	s_waitcnt lgkmcnt(0)
	scratch_store_dwordx2 v53, v[56:57], off
	scratch_load_dwordx2 v[52:53], v50, off
	;; [unrolled: 6-line block ×5, first 2 shown]
	s_waitcnt vmcnt(0)
	ds_swizzle_b32 v38, v38 offset:swizzle(SWAP,1)
	ds_swizzle_b32 v39, v39 offset:swizzle(SWAP,1)
	s_waitcnt lgkmcnt(0)
	scratch_store_dwordx2 v37, v[38:39], off
	v_cndmask_b32_e32 v37, v40, v41, vcc
	scratch_load_dwordx2 v[38:39], v37, off
	s_waitcnt vmcnt(0)
	ds_swizzle_b32 v38, v38 offset:swizzle(SWAP,1)
	ds_swizzle_b32 v39, v39 offset:swizzle(SWAP,1)
	s_waitcnt lgkmcnt(0)
	scratch_store_dwordx2 v37, v[38:39], off
	v_cndmask_b32_e32 v37, v42, v45, vcc
	scratch_load_dwordx2 v[38:39], v37, off
	;; [unrolled: 7-line block ×4, first 2 shown]
	s_waitcnt vmcnt(0)
	ds_swizzle_b32 v38, v38 offset:swizzle(SWAP,1)
	ds_swizzle_b32 v39, v39 offset:swizzle(SWAP,1)
	s_waitcnt lgkmcnt(0)
	scratch_store_dwordx2 v37, v[38:39], off
	scratch_load_dwordx2 v[36:37], v35, off
	s_waitcnt vmcnt(0)
	ds_swizzle_b32 v36, v36 offset:swizzle(SWAP,1)
	ds_swizzle_b32 v37, v37 offset:swizzle(SWAP,1)
	s_waitcnt lgkmcnt(0)
	scratch_store_dwordx2 v35, v[36:37], off
	scratch_load_dwordx2 v[34:35], v33, off
	;; [unrolled: 6-line block ×5, first 2 shown]
	s_waitcnt vmcnt(0)
	ds_swizzle_b32 v32, v32 offset:swizzle(SWAP,1)
	ds_swizzle_b32 v33, v33 offset:swizzle(SWAP,1)
	s_waitcnt lgkmcnt(0)
	scratch_store_dwordx2 v3, v[32:33], off
	v_cndmask_b32_e32 v3, v5, v8, vcc
	scratch_load_dwordx2 v[32:33], v3, off
	s_waitcnt vmcnt(0)
	ds_swizzle_b32 v32, v32 offset:swizzle(SWAP,1)
	ds_swizzle_b32 v33, v33 offset:swizzle(SWAP,1)
	s_waitcnt lgkmcnt(0)
	scratch_store_dwordx2 v3, v[32:33], off
	v_cndmask_b32_e32 v3, v6, v11, vcc
	scratch_load_dwordx2 v[6:7], v3, off
	;; [unrolled: 7-line block ×12, first 2 shown]
	s_waitcnt vmcnt(0)
	ds_swizzle_b32 v6, v6 offset:swizzle(SWAP,1)
	ds_swizzle_b32 v7, v7 offset:swizzle(SWAP,1)
	s_waitcnt lgkmcnt(0)
	scratch_store_dwordx2 v3, v[6:7], off
	scratch_load_dwordx2 v[2:3], v4, off
	s_waitcnt vmcnt(0)
	ds_swizzle_b32 v2, v2 offset:swizzle(SWAP,1)
	ds_swizzle_b32 v3, v3 offset:swizzle(SWAP,1)
	s_waitcnt lgkmcnt(0)
	scratch_store_dwordx2 v4, v[2:3], off
	v_cndmask_b32_e32 v2, v0, v1, vcc
	scratch_load_dwordx2 v[0:1], v2, off
	s_waitcnt vmcnt(0)
	ds_swizzle_b32 v0, v0 offset:swizzle(SWAP,1)
	ds_swizzle_b32 v1, v1 offset:swizzle(SWAP,1)
	s_waitcnt lgkmcnt(0)
	scratch_store_dwordx2 v2, v[0:1], off
	scratch_load_dwordx4 v[44:47], off, off
	scratch_load_dwordx4 v[52:55], off, off offset:16
	scratch_load_dwordx4 v[48:51], off, off offset:32
	;; [unrolled: 1-line block ×13, first 2 shown]
	s_waitcnt vmcnt(0)
	scratch_store_dwordx4 off, v[0:3], off offset:512 ; 16-byte Folded Spill
	scratch_load_dwordx4 v[56:59], off, off offset:224
	scratch_load_dwordx4 v[60:63], off, off offset:240
	;; [unrolled: 1-line block ×18, first 2 shown]
.LBB7_4:
	scratch_load_dword v0, off, off offset:528 ; 4-byte Folded Reload
	s_waitcnt vmcnt(0)
	v_lshlrev_b32_e32 v0, 3, v0
	global_store_dwordx4 v0, v[44:47], s[6:7]
	global_store_dwordx4 v0, v[52:55], s[6:7] offset:16
	global_store_dwordx4 v0, v[48:51], s[6:7] offset:32
	;; [unrolled: 1-line block ×12, first 2 shown]
	scratch_load_dwordx4 v[2:5], off, off offset:512 ; 16-byte Folded Reload
	s_waitcnt vmcnt(0)
	global_store_dwordx4 v0, v[2:5], s[6:7] offset:208
	global_store_dwordx4 v0, v[56:59], s[6:7] offset:224
	;; [unrolled: 1-line block ×19, first 2 shown]
	s_endpgm
	.section	.rodata,"a",@progbits
	.p2align	6, 0x0
	.amdhsa_kernel _Z20warp_exchange_kernelILj64ELj64EN6common25StripedToBlockedShuffleOpEdEvPT2_S3_b
		.amdhsa_group_segment_fixed_size 0
		.amdhsa_private_segment_fixed_size 1056
		.amdhsa_kernarg_size 20
		.amdhsa_user_sgpr_count 2
		.amdhsa_user_sgpr_dispatch_ptr 0
		.amdhsa_user_sgpr_queue_ptr 0
		.amdhsa_user_sgpr_kernarg_segment_ptr 1
		.amdhsa_user_sgpr_dispatch_id 0
		.amdhsa_user_sgpr_kernarg_preload_length 0
		.amdhsa_user_sgpr_kernarg_preload_offset 0
		.amdhsa_user_sgpr_private_segment_size 0
		.amdhsa_uses_dynamic_stack 0
		.amdhsa_enable_private_segment 1
		.amdhsa_system_sgpr_workgroup_id_x 1
		.amdhsa_system_sgpr_workgroup_id_y 0
		.amdhsa_system_sgpr_workgroup_id_z 0
		.amdhsa_system_sgpr_workgroup_info 0
		.amdhsa_system_vgpr_workitem_id 0
		.amdhsa_next_free_vgpr 128
		.amdhsa_next_free_sgpr 8
		.amdhsa_accum_offset 128
		.amdhsa_reserve_vcc 1
		.amdhsa_float_round_mode_32 0
		.amdhsa_float_round_mode_16_64 0
		.amdhsa_float_denorm_mode_32 3
		.amdhsa_float_denorm_mode_16_64 3
		.amdhsa_dx10_clamp 1
		.amdhsa_ieee_mode 1
		.amdhsa_fp16_overflow 0
		.amdhsa_tg_split 0
		.amdhsa_exception_fp_ieee_invalid_op 0
		.amdhsa_exception_fp_denorm_src 0
		.amdhsa_exception_fp_ieee_div_zero 0
		.amdhsa_exception_fp_ieee_overflow 0
		.amdhsa_exception_fp_ieee_underflow 0
		.amdhsa_exception_fp_ieee_inexact 0
		.amdhsa_exception_int_div_zero 0
	.end_amdhsa_kernel
	.section	.text._Z20warp_exchange_kernelILj64ELj64EN6common25StripedToBlockedShuffleOpEdEvPT2_S3_b,"axG",@progbits,_Z20warp_exchange_kernelILj64ELj64EN6common25StripedToBlockedShuffleOpEdEvPT2_S3_b,comdat
.Lfunc_end7:
	.size	_Z20warp_exchange_kernelILj64ELj64EN6common25StripedToBlockedShuffleOpEdEvPT2_S3_b, .Lfunc_end7-_Z20warp_exchange_kernelILj64ELj64EN6common25StripedToBlockedShuffleOpEdEvPT2_S3_b
                                        ; -- End function
	.section	.AMDGPU.csdata,"",@progbits
; Kernel info:
; codeLenInByte = 20452
; NumSgprs: 14
; NumVgprs: 128
; NumAgprs: 0
; TotalNumVgprs: 128
; ScratchSize: 1056
; MemoryBound: 1
; FloatMode: 240
; IeeeMode: 1
; LDSByteSize: 0 bytes/workgroup (compile time only)
; SGPRBlocks: 1
; VGPRBlocks: 15
; NumSGPRsForWavesPerEU: 14
; NumVGPRsForWavesPerEU: 128
; AccumOffset: 128
; Occupancy: 4
; WaveLimiterHint : 0
; COMPUTE_PGM_RSRC2:SCRATCH_EN: 1
; COMPUTE_PGM_RSRC2:USER_SGPR: 2
; COMPUTE_PGM_RSRC2:TRAP_HANDLER: 0
; COMPUTE_PGM_RSRC2:TGID_X_EN: 1
; COMPUTE_PGM_RSRC2:TGID_Y_EN: 0
; COMPUTE_PGM_RSRC2:TGID_Z_EN: 0
; COMPUTE_PGM_RSRC2:TIDIG_COMP_CNT: 0
; COMPUTE_PGM_RSRC3_GFX90A:ACCUM_OFFSET: 31
; COMPUTE_PGM_RSRC3_GFX90A:TG_SPLIT: 0
	.section	.text._Z20warp_exchange_kernelILj32ELj32EN6common25StripedToBlockedShuffleOpEfEvPT2_S3_b,"axG",@progbits,_Z20warp_exchange_kernelILj32ELj32EN6common25StripedToBlockedShuffleOpEfEvPT2_S3_b,comdat
	.protected	_Z20warp_exchange_kernelILj32ELj32EN6common25StripedToBlockedShuffleOpEfEvPT2_S3_b ; -- Begin function _Z20warp_exchange_kernelILj32ELj32EN6common25StripedToBlockedShuffleOpEfEvPT2_S3_b
	.globl	_Z20warp_exchange_kernelILj32ELj32EN6common25StripedToBlockedShuffleOpEfEvPT2_S3_b
	.p2align	8
	.type	_Z20warp_exchange_kernelILj32ELj32EN6common25StripedToBlockedShuffleOpEfEvPT2_S3_b,@function
_Z20warp_exchange_kernelILj32ELj32EN6common25StripedToBlockedShuffleOpEfEvPT2_S3_b: ; @_Z20warp_exchange_kernelILj32ELj32EN6common25StripedToBlockedShuffleOpEfEvPT2_S3_b
; %bb.0:
	s_load_dwordx4 s[4:7], s[0:1], 0x0
	s_load_dword s2, s[0:1], 0x10
	v_lshlrev_b32_e32 v1, 7, v0
	v_lshlrev_b32_e32 v0, 5, v0
	s_waitcnt lgkmcnt(0)
	global_load_dwordx4 v[14:17], v1, s[4:5] offset:48
	global_load_dwordx4 v[22:25], v1, s[4:5] offset:32
	;; [unrolled: 1-line block ×3, first 2 shown]
	global_load_dwordx4 v[30:33], v1, s[4:5]
	global_load_dwordx4 v[2:5], v1, s[4:5] offset:112
	global_load_dwordx4 v[6:9], v1, s[4:5] offset:96
	;; [unrolled: 1-line block ×4, first 2 shown]
	v_mbcnt_lo_u32_b32 v1, -1, 0
	s_bitcmp0_b32 s2, 0
	v_mbcnt_hi_u32_b32 v1, -1, v1
	s_cbranch_scc0 .LBB8_2
; %bb.1:
	v_and_b32_e32 v34, 16, v1
	v_lshlrev_b32_e32 v35, 2, v34
	s_waitcnt vmcnt(4)
	scratch_store_dwordx4 off, v[30:33], off
	scratch_store_dwordx4 off, v[26:29], off offset:16
	scratch_store_dwordx4 off, v[22:25], off offset:32
	;; [unrolled: 1-line block ×3, first 2 shown]
	s_waitcnt vmcnt(4)
	scratch_store_dwordx4 off, v[18:21], off offset:64
	v_xor_b32_e32 v35, 64, v35
	scratch_load_dword v36, v35, off
	v_mov_b32_e32 v39, 0x44
	v_cmp_eq_u32_e64 s[0:1], 0, v34
	v_mov_b32_e32 v38, 0x48
	v_mov_b32_e32 v41, 0x4c
	v_cndmask_b32_e64 v34, 4, v39, s[0:1]
	v_mov_b32_e32 v40, 0x50
	scratch_store_dwordx4 off, v[10:13], off offset:80
	v_mov_b32_e32 v42, 0x54
	v_mov_b32_e32 v43, 0x58
	;; [unrolled: 1-line block ×4, first 2 shown]
	scratch_store_dwordx4 off, v[6:9], off offset:96
	v_mov_b32_e32 v46, 0x64
	v_mov_b32_e32 v47, 0x68
	v_cndmask_b32_e64 v49, 40, v47, s[0:1]
	scratch_store_dwordx4 off, v[2:5], off offset:112
	s_waitcnt vmcnt(3)
	ds_swizzle_b32 v36, v36 offset:swizzle(SWAP,16)
	s_waitcnt lgkmcnt(0)
	scratch_store_dword v35, v36, off
	scratch_load_dword v35, v34, off
	v_cndmask_b32_e64 v36, 8, v38, s[0:1]
	s_waitcnt vmcnt(0)
	ds_swizzle_b32 v35, v35 offset:swizzle(SWAP,16)
	s_waitcnt lgkmcnt(0)
	scratch_store_dword v34, v35, off
	scratch_load_dword v34, v36, off
	v_cndmask_b32_e64 v35, 12, v41, s[0:1]
	;; [unrolled: 6-line block ×8, first 2 shown]
	s_waitcnt vmcnt(0)
	ds_swizzle_b32 v34, v34 offset:swizzle(SWAP,16)
	s_waitcnt lgkmcnt(0)
	scratch_store_dword v36, v34, off
	scratch_load_dword v34, v35, off
	v_and_b32_e32 v36, 8, v1
	v_lshlrev_b32_e32 v37, 2, v36
	v_xor_b32_e32 v37, 32, v37
	scratch_load_dword v48, v37, off
	v_cmp_eq_u32_e32 vcc, 0, v36
	s_waitcnt vmcnt(1)
	ds_swizzle_b32 v34, v34 offset:swizzle(SWAP,16)
	v_cndmask_b32_e64 v36, 4, 36, vcc
	v_cndmask_b32_e64 v51, 8, 40, vcc
	;; [unrolled: 1-line block ×3, first 2 shown]
	s_waitcnt vmcnt(0)
	ds_swizzle_b32 v48, v48 offset:swizzle(SWAP,8)
	s_waitcnt lgkmcnt(1)
	scratch_store_dword v35, v34, off
	scratch_load_dword v35, v49, off
	v_cndmask_b32_e64 v55, 20, 52, vcc
	v_cndmask_b32_e32 v34, 64, v45, vcc
	s_waitcnt lgkmcnt(0)
	scratch_store_dword v37, v48, off
	scratch_load_dword v37, v36, off
	v_mov_b32_e32 v48, 0x6c
	v_cndmask_b32_e64 v50, 44, v48, s[0:1]
	s_waitcnt vmcnt(2)
	ds_swizzle_b32 v35, v35 offset:swizzle(SWAP,16)
	s_waitcnt vmcnt(0)
	ds_swizzle_b32 v37, v37 offset:swizzle(SWAP,8)
	s_waitcnt lgkmcnt(1)
	scratch_store_dword v49, v35, off
	scratch_load_dword v35, v50, off
	v_mov_b32_e32 v49, 0x70
	s_waitcnt lgkmcnt(0)
	scratch_store_dword v36, v37, off
	scratch_load_dword v36, v51, off
	v_cndmask_b32_e64 v37, 48, v49, s[0:1]
	s_waitcnt vmcnt(2)
	ds_swizzle_b32 v35, v35 offset:swizzle(SWAP,16)
	s_waitcnt lgkmcnt(0)
	scratch_store_dword v50, v35, off
	scratch_load_dword v35, v37, off
	s_waitcnt vmcnt(2)
	ds_swizzle_b32 v36, v36 offset:swizzle(SWAP,8)
	v_mov_b32_e32 v50, 0x74
	v_cndmask_b32_e64 v53, 52, v50, s[0:1]
	s_waitcnt lgkmcnt(0)
	scratch_store_dword v51, v36, off
	scratch_load_dword v36, v52, off
	v_mov_b32_e32 v51, 0x78
	v_cndmask_b32_e64 v54, 56, v51, s[0:1]
	s_waitcnt vmcnt(2)
	ds_swizzle_b32 v35, v35 offset:swizzle(SWAP,16)
	s_waitcnt lgkmcnt(0)
	scratch_store_dword v37, v35, off
	scratch_load_dword v35, v53, off
	s_waitcnt vmcnt(2)
	ds_swizzle_b32 v36, v36 offset:swizzle(SWAP,8)
	v_cndmask_b32_e64 v37, 16, 48, vcc
	s_waitcnt lgkmcnt(0)
	scratch_store_dword v52, v36, off
	scratch_load_dword v36, v37, off
	s_waitcnt vmcnt(2)
	ds_swizzle_b32 v35, v35 offset:swizzle(SWAP,16)
	s_waitcnt lgkmcnt(0)
	scratch_store_dword v53, v35, off
	scratch_load_dword v35, v54, off
	s_waitcnt vmcnt(2)
	ds_swizzle_b32 v36, v36 offset:swizzle(SWAP,8)
	v_and_b32_e32 v53, 4, v1
	v_lshlrev_b32_e32 v52, 2, v53
	v_xor_b32_e32 v56, 16, v52
	v_mov_b32_e32 v52, 0x7c
	s_waitcnt lgkmcnt(0)
	scratch_store_dword v37, v36, off
	scratch_load_dword v36, v55, off
	s_nop 0
	scratch_load_dword v37, v56, off
	v_cndmask_b32_e64 v57, 60, v52, s[0:1]
	v_cmp_eq_u32_e64 s[0:1], 0, v53
	s_waitcnt vmcnt(3)
	ds_swizzle_b32 v35, v35 offset:swizzle(SWAP,16)
	v_cndmask_b32_e64 v53, 4, 20, s[0:1]
	v_cndmask_b32_e64 v62, 64, v40, s[0:1]
	;; [unrolled: 1-line block ×3, first 2 shown]
	s_waitcnt lgkmcnt(0)
	scratch_store_dword v54, v35, off
	scratch_load_dword v35, v57, off
	s_waitcnt vmcnt(3)
	ds_swizzle_b32 v36, v36 offset:swizzle(SWAP,8)
	s_waitcnt vmcnt(2)
	ds_swizzle_b32 v37, v37 offset:swizzle(SWAP,4)
	v_cndmask_b32_e64 v54, 24, 56, vcc
	s_waitcnt lgkmcnt(1)
	scratch_store_dword v55, v36, off
	s_waitcnt lgkmcnt(0)
	scratch_store_dword v56, v37, off
	scratch_load_dword v36, v54, off
	s_nop 0
	scratch_load_dword v37, v53, off
	v_cndmask_b32_e64 v56, 8, 24, s[0:1]
	v_cndmask_b32_e64 v55, 28, 60, vcc
	s_waitcnt vmcnt(4)
	ds_swizzle_b32 v35, v35 offset:swizzle(SWAP,16)
	s_waitcnt lgkmcnt(0)
	scratch_store_dword v57, v35, off
	scratch_load_dword v35, v34, off
	s_waitcnt vmcnt(3)
	ds_swizzle_b32 v36, v36 offset:swizzle(SWAP,8)
	s_waitcnt vmcnt(2)
	ds_swizzle_b32 v37, v37 offset:swizzle(SWAP,4)
	s_waitcnt lgkmcnt(1)
	scratch_store_dword v54, v36, off
	s_waitcnt lgkmcnt(0)
	scratch_store_dword v53, v37, off
	scratch_load_dword v36, v56, off
	s_nop 0
	scratch_load_dword v37, v55, off
	v_cndmask_b32_e32 v53, v39, v46, vcc
	v_cndmask_b32_e64 v57, 12, 28, s[0:1]
	s_waitcnt vmcnt(4)
	ds_swizzle_b32 v35, v35 offset:swizzle(SWAP,8)
	s_waitcnt lgkmcnt(0)
	scratch_store_dword v34, v35, off
	scratch_load_dword v34, v53, off
	s_waitcnt vmcnt(2)
	ds_swizzle_b32 v37, v37 offset:swizzle(SWAP,8)
	ds_swizzle_b32 v36, v36 offset:swizzle(SWAP,4)
	v_and_b32_e32 v35, 2, v1
	v_lshlrev_b32_e32 v54, 2, v35
	v_xor_b32_e32 v54, 8, v54
	s_waitcnt lgkmcnt(1)
	scratch_store_dword v55, v37, off
	s_waitcnt lgkmcnt(0)
	scratch_store_dword v56, v36, off
	v_or_b32_e32 v54, 0, v54
	scratch_load_dword v36, v57, off
	scratch_load_dword v37, v54, off
	v_cndmask_b32_e32 v55, v38, v47, vcc
	v_cmp_eq_u32_e64 s[2:3], 0, v35
	s_waitcnt vmcnt(4)
	ds_swizzle_b32 v34, v34 offset:swizzle(SWAP,8)
	v_cndmask_b32_e64 v56, 4, 12, s[2:3]
	v_or_b32_e32 v56, 0, v56
	v_cndmask_b32_e64 v35, 16, 24, s[2:3]
	v_cndmask_b32_e64 v59, 20, 28, s[2:3]
	s_waitcnt lgkmcnt(0)
	scratch_store_dword v53, v34, off
	scratch_load_dword v34, v55, off
	v_cndmask_b32_e64 v53, 32, 48, s[0:1]
	scratch_load_dword v58, v53, off
	s_waitcnt vmcnt(4)
	ds_swizzle_b32 v36, v36 offset:swizzle(SWAP,4)
	s_waitcnt vmcnt(3)
	ds_swizzle_b32 v37, v37 offset:swizzle(SWAP,2)
	s_waitcnt lgkmcnt(1)
	scratch_store_dword v57, v36, off
	s_waitcnt lgkmcnt(0)
	scratch_store_dword v54, v37, off
	v_cndmask_b32_e32 v37, v41, v48, vcc
	scratch_load_dword v36, v56, off
	v_cndmask_b32_e64 v60, 32, 40, s[2:3]
	v_cndmask_b32_e64 v63, 36, 44, s[2:3]
	;; [unrolled: 1-line block ×3, first 2 shown]
	s_waitcnt vmcnt(4)
	ds_swizzle_b32 v34, v34 offset:swizzle(SWAP,8)
	s_waitcnt vmcnt(3)
	ds_swizzle_b32 v54, v58 offset:swizzle(SWAP,4)
	v_cndmask_b32_e64 v58, 36, 52, s[0:1]
	s_waitcnt lgkmcnt(1)
	scratch_store_dword v55, v34, off
	scratch_load_dword v34, v37, off
	v_and_b32_e32 v55, 1, v1
	v_lshlrev_b32_e32 v57, 2, v55
	s_waitcnt lgkmcnt(0)
	scratch_store_dword v53, v54, off
	s_waitcnt vmcnt(3)
	ds_swizzle_b32 v36, v36 offset:swizzle(SWAP,2)
	scratch_load_dword v53, v58, off
	scratch_load_dword v54, v35, off
	v_xor_b32_e32 v57, 4, v57
	v_or_b32_e32 v57, 0, v57
	v_cmp_eq_u32_e64 s[4:5], 0, v55
	s_waitcnt lgkmcnt(0)
	scratch_store_dword v56, v36, off
	v_cndmask_b32_e32 v56, v40, v49, vcc
	scratch_load_dword v36, v57, off
	v_cndmask_b32_e64 v55, 40, 56, s[0:1]
	v_cndmask_b32_e64 v61, 16, 20, s[4:5]
	;; [unrolled: 1-line block ×7, first 2 shown]
	s_waitcnt vmcnt(5)
	ds_swizzle_b32 v34, v34 offset:swizzle(SWAP,8)
	s_waitcnt lgkmcnt(0)
	scratch_store_dword v37, v34, off
	scratch_load_dword v34, v56, off
	s_waitcnt vmcnt(5)
	ds_swizzle_b32 v37, v53 offset:swizzle(SWAP,4)
	s_waitcnt vmcnt(4)
	ds_swizzle_b32 v53, v54 offset:swizzle(SWAP,2)
	s_waitcnt lgkmcnt(1)
	scratch_store_dword v58, v37, off
	s_waitcnt lgkmcnt(0)
	scratch_store_dword v35, v53, off
	scratch_load_dword v35, v55, off
	s_nop 0
	scratch_load_dword v37, v59, off
	v_cndmask_b32_e64 v54, 8, 12, s[4:5]
	v_or_b32_e32 v53, 0, v54
	v_cndmask_b32_e32 v58, v42, v50, vcc
	scratch_load_dword v54, v53, off
	s_waitcnt vmcnt(5)
	ds_swizzle_b32 v34, v34 offset:swizzle(SWAP,8)
	s_waitcnt lgkmcnt(0)
	scratch_store_dword v56, v34, off
	scratch_load_dword v34, v58, off
	s_waitcnt vmcnt(4)
	ds_swizzle_b32 v35, v35 offset:swizzle(SWAP,4)
	s_waitcnt vmcnt(3)
	ds_swizzle_b32 v37, v37 offset:swizzle(SWAP,2)
	v_cndmask_b32_e64 v56, 44, 60, s[0:1]
	s_waitcnt lgkmcnt(1)
	scratch_store_dword v55, v35, off
	s_waitcnt lgkmcnt(0)
	scratch_store_dword v59, v37, off
	scratch_load_dword v35, v56, off
	s_nop 0
	scratch_load_dword v37, v60, off
	scratch_load_dword v55, v61, off
	v_cndmask_b32_e32 v59, v43, v51, vcc
	s_waitcnt vmcnt(5)
	ds_swizzle_b32 v34, v34 offset:swizzle(SWAP,8)
	s_waitcnt vmcnt(2)
	ds_swizzle_b32 v35, v35 offset:swizzle(SWAP,4)
	s_waitcnt lgkmcnt(1)
	scratch_store_dword v58, v34, off
	scratch_load_dword v34, v59, off
	s_nop 0
	scratch_load_dword v58, v62, off
	s_waitcnt vmcnt(4)
	ds_swizzle_b32 v37, v37 offset:swizzle(SWAP,2)
	s_waitcnt lgkmcnt(1)
	scratch_store_dword v56, v35, off
	s_waitcnt lgkmcnt(0)
	scratch_store_dword v60, v37, off
	scratch_load_dword v35, v63, off
	scratch_load_dword v56, v64, off
	v_cndmask_b32_e64 v60, v39, v42, s[0:1]
	s_waitcnt vmcnt(5)
	ds_swizzle_b32 v34, v34 offset:swizzle(SWAP,8)
	s_waitcnt vmcnt(4)
	ds_swizzle_b32 v37, v58 offset:swizzle(SWAP,4)
	v_cndmask_b32_e32 v58, v44, v52, vcc
	s_waitcnt lgkmcnt(1)
	scratch_store_dword v59, v34, off
	s_waitcnt lgkmcnt(0)
	scratch_store_dword v62, v37, off
	scratch_load_dword v34, v58, off
	s_nop 0
	scratch_load_dword v37, v60, off
	scratch_load_dword v59, v65, off
	s_waitcnt vmcnt(6)
	ds_swizzle_b32 v35, v35 offset:swizzle(SWAP,2)
	v_cndmask_b32_e64 v62, v45, v49, s[0:1]
	s_waitcnt lgkmcnt(0)
	scratch_store_dword v63, v35, off
	scratch_load_dword v63, v67, off
	s_waitcnt vmcnt(4)
	ds_swizzle_b32 v34, v34 offset:swizzle(SWAP,8)
	s_waitcnt vmcnt(3)
	ds_swizzle_b32 v35, v37 offset:swizzle(SWAP,4)
	s_waitcnt vmcnt(2)
	ds_swizzle_b32 v37, v59 offset:swizzle(SWAP,2)
	s_waitcnt lgkmcnt(2)
	scratch_store_dword v58, v34, off
	s_waitcnt lgkmcnt(1)
	scratch_store_dword v60, v35, off
	;; [unrolled: 2-line block ×3, first 2 shown]
	v_cndmask_b32_e64 v59, 52, 60, s[2:3]
	scratch_load_dword v34, v62, off
	scratch_load_dword v35, v59, off
	scratch_load_dword v58, v68, off
	scratch_load_dword v37, v66, off
	v_cndmask_b32_e64 v60, v46, v50, s[0:1]
	v_cndmask_b32_e64 v65, v41, v44, s[0:1]
	s_waitcnt vmcnt(3)
	ds_swizzle_b32 v34, v34 offset:swizzle(SWAP,4)
	s_waitcnt vmcnt(2)
	ds_swizzle_b32 v35, v35 offset:swizzle(SWAP,2)
	;; [unrolled: 2-line block ×3, first 2 shown]
	s_waitcnt lgkmcnt(2)
	scratch_store_dword v62, v34, off
	scratch_load_dword v34, v60, off
	v_cndmask_b32_e64 v62, 64, v38, s[2:3]
	s_waitcnt lgkmcnt(0)
	scratch_store_dword v66, v37, off
	scratch_store_dword v59, v35, off
	v_cndmask_b32_e64 v66, 48, 52, s[4:5]
	scratch_load_dword v35, v62, off
	scratch_load_dword v59, v66, off
	scratch_load_dword v37, v65, off
	s_waitcnt vmcnt(5)
	ds_swizzle_b32 v34, v34 offset:swizzle(SWAP,4)
	s_waitcnt vmcnt(2)
	ds_swizzle_b32 v35, v35 offset:swizzle(SWAP,2)
	s_waitcnt lgkmcnt(1)
	scratch_store_dword v60, v34, off
	v_cndmask_b32_e64 v60, v47, v51, s[0:1]
	s_waitcnt vmcnt(1)
	ds_swizzle_b32 v34, v37 offset:swizzle(SWAP,4)
	scratch_load_dword v69, v60, off
	s_waitcnt lgkmcnt(1)
	scratch_store_dword v62, v35, off
	ds_swizzle_b32 v35, v54 offset:swizzle(SWAP,1)
	s_waitcnt lgkmcnt(1)
	scratch_store_dword v65, v34, off
	v_cndmask_b32_e64 v65, v39, v41, s[2:3]
	scratch_load_dword v62, v65, off
	ds_swizzle_b32 v34, v36 offset:swizzle(SWAP,1)
	s_waitcnt lgkmcnt(0)
	scratch_store_dword v57, v34, off
	scratch_store_dword v53, v35, off
	v_cndmask_b32_e64 v54, 56, 60, s[4:5]
	scratch_load_dword v53, v54, off
	scratch_load_dwordx4 v[34:37], off, off
	s_waitcnt vmcnt(7)
	ds_swizzle_b32 v57, v69 offset:swizzle(SWAP,4)
	v_cndmask_b32_e64 v69, 64, v39, s[4:5]
	v_cndmask_b32_e64 v39, v45, v47, s[2:3]
	;; [unrolled: 1-line block ×3, first 2 shown]
	s_waitcnt lgkmcnt(0)
	scratch_store_dword v60, v57, off
	v_cndmask_b32_e64 v57, v48, v52, s[0:1]
	s_waitcnt vmcnt(5)
	ds_swizzle_b32 v60, v62 offset:swizzle(SWAP,2)
	scratch_load_dword v62, v57, off
	s_waitcnt lgkmcnt(0)
	scratch_store_dword v65, v60, off
	v_cndmask_b32_e64 v60, v40, v43, s[2:3]
	scratch_load_dword v65, v60, off
	scratch_load_dword v70, v39, off
	;; [unrolled: 1-line block ×3, first 2 shown]
	s_waitcnt vmcnt(4)
	ds_swizzle_b32 v62, v62 offset:swizzle(SWAP,4)
	s_waitcnt lgkmcnt(0)
	scratch_store_dword v57, v62, off
	s_waitcnt vmcnt(3)
	ds_swizzle_b32 v57, v65 offset:swizzle(SWAP,2)
	v_cndmask_b32_e64 v65, v43, v44, s[4:5]
	s_waitcnt lgkmcnt(0)
	scratch_store_dword v60, v57, off
	v_cndmask_b32_e64 v57, v49, v51, s[2:3]
	v_cndmask_b32_e64 v60, v38, v41, s[4:5]
	scratch_load_dword v38, v57, off
	s_waitcnt vmcnt(4)
	ds_swizzle_b32 v41, v70 offset:swizzle(SWAP,2)
	s_waitcnt vmcnt(3)
	ds_swizzle_b32 v51, v71 offset:swizzle(SWAP,1)
	s_waitcnt lgkmcnt(1)
	scratch_store_dword v39, v41, off
	v_cndmask_b32_e64 v39, v46, v48, s[2:3]
	scratch_load_dword v62, v60, off
	scratch_load_dword v41, v39, off
	v_cndmask_b32_e64 v46, v45, v46, s[4:5]
	s_waitcnt vmcnt(3)
	ds_swizzle_b32 v38, v38 offset:swizzle(SWAP,2)
	s_waitcnt lgkmcnt(0)
	scratch_store_dword v57, v38, off
	v_cndmask_b32_e64 v38, v42, v44, s[2:3]
	v_cndmask_b32_e64 v57, v40, v42, s[4:5]
	scratch_load_dword v40, v38, off
	v_cndmask_b32_e64 v42, v50, v52, s[2:3]
	scratch_load_dword v43, v42, off
	s_waitcnt vmcnt(3)
	ds_swizzle_b32 v41, v41 offset:swizzle(SWAP,2)
	ds_swizzle_b32 v52, v62 offset:swizzle(SWAP,1)
	s_waitcnt vmcnt(1)
	ds_swizzle_b32 v40, v40 offset:swizzle(SWAP,2)
	s_waitcnt lgkmcnt(0)
	scratch_store_dword v38, v40, off
	scratch_store_dword v39, v41, off
	s_waitcnt vmcnt(2)
	ds_swizzle_b32 v38, v43 offset:swizzle(SWAP,2)
	scratch_load_dword v48, v57, off
	scratch_load_dword v70, v65, off
	;; [unrolled: 1-line block ×4, first 2 shown]
	ds_swizzle_b32 v39, v56 offset:swizzle(SWAP,1)
	ds_swizzle_b32 v40, v58 offset:swizzle(SWAP,1)
	ds_swizzle_b32 v41, v59 offset:swizzle(SWAP,1)
	s_waitcnt lgkmcnt(3)
	scratch_store_dword v42, v38, off
	scratch_load_dword v49, v74, off
	scratch_load_dword v50, v75, off
	ds_swizzle_b32 v38, v55 offset:swizzle(SWAP,1)
	s_waitcnt lgkmcnt(3)
	scratch_store_dword v64, v39, off
	ds_swizzle_b32 v39, v53 offset:swizzle(SWAP,1)
	s_waitcnt lgkmcnt(1)
	scratch_store_dword v61, v38, off
	;; [unrolled: 3-line block ×3, first 2 shown]
	scratch_store_dword v68, v40, off
	scratch_store_dword v66, v41, off
	;; [unrolled: 1-line block ×3, first 2 shown]
	scratch_load_dwordx4 v[38:41], off, off offset:32
	s_nop 0
	scratch_load_dwordx4 v[42:45], off, off offset:48
	s_waitcnt vmcnt(14)
	ds_swizzle_b32 v48, v48 offset:swizzle(SWAP,1)
	scratch_store_dword v60, v52, off
	scratch_store_dword v69, v51, off
	s_waitcnt vmcnt(13)
	ds_swizzle_b32 v52, v73 offset:swizzle(SWAP,1)
	ds_swizzle_b32 v51, v70 offset:swizzle(SWAP,1)
	;; [unrolled: 1-line block ×3, first 2 shown]
	s_waitcnt lgkmcnt(3)
	scratch_store_dword v57, v48, off
	s_waitcnt lgkmcnt(1)
	scratch_store_dword v65, v51, off
	;; [unrolled: 2-line block ×3, first 2 shown]
	s_waitcnt vmcnt(14)
	ds_swizzle_b32 v58, v49 offset:swizzle(SWAP,1)
	s_waitcnt vmcnt(13)
	ds_swizzle_b32 v59, v50 offset:swizzle(SWAP,1)
	scratch_store_dword v47, v52, off
	scratch_load_dwordx4 v[54:57], off, off offset:16
	s_nop 0
	scratch_load_dwordx4 v[46:49], off, off offset:64
	scratch_load_dwordx4 v[50:53], off, off offset:80
	s_waitcnt lgkmcnt(1)
	scratch_store_dword v74, v58, off
	s_waitcnt lgkmcnt(0)
	scratch_store_dword v75, v59, off
	scratch_load_dwordx4 v[58:61], off, off offset:96
	s_nop 0
	scratch_load_dwordx4 v[62:65], off, off offset:112
	s_cbranch_execz .LBB8_3
	s_branch .LBB8_4
.LBB8_2:
                                        ; implicit-def: $vgpr64_vgpr65
                                        ; implicit-def: $vgpr60_vgpr61
                                        ; implicit-def: $vgpr52_vgpr53
                                        ; implicit-def: $vgpr48_vgpr49
                                        ; implicit-def: $vgpr44_vgpr45
                                        ; implicit-def: $vgpr40_vgpr41
                                        ; implicit-def: $vgpr56_vgpr57
                                        ; implicit-def: $vgpr36_vgpr37
.LBB8_3:
	s_waitcnt vmcnt(4)
	scratch_store_dwordx4 off, v[30:33], off
	scratch_store_dwordx4 off, v[26:29], off offset:16
	scratch_store_dwordx4 off, v[22:25], off offset:32
	;; [unrolled: 1-line block ×3, first 2 shown]
	s_waitcnt vmcnt(4)
	scratch_store_dwordx4 off, v[18:21], off offset:64
	scratch_store_dwordx4 off, v[10:13], off offset:80
	v_and_b32_e32 v14, 16, v1
	v_lshlrev_b32_e32 v15, 2, v14
	v_xor_b32_e32 v15, 64, v15
	scratch_load_dword v16, v15, off
	v_cmp_eq_u32_e64 s[0:1], 0, v14
	v_mov_b32_e32 v10, 0x50
	scratch_store_dwordx4 off, v[6:9], off offset:96
	v_cndmask_b32_e64 v12, 16, v10, s[0:1]
	scratch_store_dwordx4 off, v[2:5], off offset:112
	v_mov_b32_e32 v6, 0x60
	v_cndmask_b32_e64 v8, 32, v6, s[0:1]
	v_mov_b32_e32 v2, 0x70
	v_cndmask_b32_e64 v4, 48, v2, s[0:1]
	s_waitcnt vmcnt(2)
	ds_swizzle_b32 v17, v16 offset:swizzle(SWAP,16)
	v_mov_b32_e32 v16, 0x44
	v_cndmask_b32_e64 v18, 4, v16, s[0:1]
	s_waitcnt lgkmcnt(0)
	scratch_store_dword v15, v17, off
	scratch_load_dword v14, v18, off
	s_waitcnt vmcnt(0)
	ds_swizzle_b32 v15, v14 offset:swizzle(SWAP,16)
	v_mov_b32_e32 v14, 0x48
	v_cndmask_b32_e64 v17, 8, v14, s[0:1]
	s_waitcnt lgkmcnt(0)
	scratch_store_dword v18, v15, off
	scratch_load_dword v15, v17, off
	;; [unrolled: 7-line block ×3, first 2 shown]
	s_waitcnt vmcnt(0)
	ds_swizzle_b32 v17, v17 offset:swizzle(SWAP,16)
	s_waitcnt lgkmcnt(0)
	scratch_store_dword v19, v17, off
	scratch_load_dword v11, v12, off
	s_waitcnt vmcnt(0)
	ds_swizzle_b32 v13, v11 offset:swizzle(SWAP,16)
	v_mov_b32_e32 v11, 0x54
	v_cndmask_b32_e64 v17, 20, v11, s[0:1]
	s_waitcnt lgkmcnt(0)
	scratch_store_dword v12, v13, off
	scratch_load_dword v12, v17, off
	s_waitcnt vmcnt(0)
	ds_swizzle_b32 v13, v12 offset:swizzle(SWAP,16)
	v_mov_b32_e32 v12, 0x58
	v_cndmask_b32_e64 v18, 24, v12, s[0:1]
	;; [unrolled: 7-line block ×3, first 2 shown]
	s_waitcnt lgkmcnt(0)
	scratch_store_dword v18, v17, off
	scratch_load_dword v17, v19, off
	s_waitcnt vmcnt(0)
	ds_swizzle_b32 v17, v17 offset:swizzle(SWAP,16)
	s_waitcnt lgkmcnt(0)
	scratch_store_dword v19, v17, off
	scratch_load_dword v7, v8, off
	s_waitcnt vmcnt(0)
	ds_swizzle_b32 v9, v7 offset:swizzle(SWAP,16)
	v_mov_b32_e32 v7, 0x64
	v_cndmask_b32_e64 v17, 36, v7, s[0:1]
	s_waitcnt lgkmcnt(0)
	scratch_store_dword v8, v9, off
	scratch_load_dword v8, v17, off
	v_and_b32_e32 v9, 8, v1
	v_lshlrev_b32_e32 v18, 2, v9
	v_xor_b32_e32 v18, 32, v18
	scratch_load_dword v19, v18, off
	v_cmp_eq_u32_e32 vcc, 0, v9
	v_mov_b32_e32 v9, 0x6c
	s_waitcnt vmcnt(1)
	ds_swizzle_b32 v20, v8 offset:swizzle(SWAP,16)
	v_mov_b32_e32 v8, 0x68
	v_cndmask_b32_e64 v21, 40, v8, s[0:1]
	s_waitcnt vmcnt(0)
	ds_swizzle_b32 v19, v19 offset:swizzle(SWAP,8)
	s_waitcnt lgkmcnt(1)
	scratch_store_dword v17, v20, off
	scratch_load_dword v17, v21, off
	v_cndmask_b32_e64 v20, 4, 36, vcc
	s_waitcnt lgkmcnt(0)
	scratch_store_dword v18, v19, off
	scratch_load_dword v18, v20, off
	v_cndmask_b32_e64 v19, 44, v9, s[0:1]
	s_waitcnt vmcnt(2)
	ds_swizzle_b32 v17, v17 offset:swizzle(SWAP,16)
	s_waitcnt lgkmcnt(0)
	scratch_store_dword v21, v17, off
	scratch_load_dword v17, v19, off
	s_waitcnt vmcnt(2)
	ds_swizzle_b32 v18, v18 offset:swizzle(SWAP,8)
	v_cndmask_b32_e64 v21, 8, 40, vcc
	s_waitcnt lgkmcnt(0)
	scratch_store_dword v20, v18, off
	scratch_load_dword v18, v21, off
	s_waitcnt vmcnt(2)
	ds_swizzle_b32 v17, v17 offset:swizzle(SWAP,16)
	s_waitcnt lgkmcnt(0)
	scratch_store_dword v19, v17, off
	scratch_load_dword v3, v4, off
	s_waitcnt vmcnt(2)
	ds_swizzle_b32 v5, v18 offset:swizzle(SWAP,8)
	v_cndmask_b32_e64 v17, 12, 44, vcc
	s_waitcnt lgkmcnt(0)
	scratch_store_dword v21, v5, off
	scratch_load_dword v5, v17, off
	v_and_b32_e32 v21, 4, v1
	s_waitcnt vmcnt(2)
	ds_swizzle_b32 v18, v3 offset:swizzle(SWAP,16)
	v_mov_b32_e32 v3, 0x74
	v_cndmask_b32_e64 v19, 52, v3, s[0:1]
	s_waitcnt lgkmcnt(0)
	scratch_store_dword v4, v18, off
	scratch_load_dword v4, v19, off
	s_waitcnt vmcnt(2)
	ds_swizzle_b32 v5, v5 offset:swizzle(SWAP,8)
	v_cndmask_b32_e64 v18, 16, 48, vcc
	s_waitcnt lgkmcnt(0)
	scratch_store_dword v17, v5, off
	scratch_load_dword v5, v18, off
	s_waitcnt vmcnt(2)
	ds_swizzle_b32 v17, v4 offset:swizzle(SWAP,16)
	v_mov_b32_e32 v4, 0x78
	v_cndmask_b32_e64 v20, 56, v4, s[0:1]
	s_waitcnt lgkmcnt(0)
	scratch_store_dword v19, v17, off
	scratch_load_dword v17, v20, off
	s_waitcnt vmcnt(2)
	ds_swizzle_b32 v5, v5 offset:swizzle(SWAP,8)
	v_cndmask_b32_e64 v19, 20, 52, vcc
	s_waitcnt lgkmcnt(0)
	scratch_store_dword v18, v5, off
	v_lshlrev_b32_e32 v5, 2, v21
	v_xor_b32_e32 v22, 16, v5
	scratch_load_dword v23, v22, off
	scratch_load_dword v18, v19, off
	v_mov_b32_e32 v5, 0x7c
	v_cndmask_b32_e64 v24, 60, v5, s[0:1]
	v_cmp_eq_u32_e64 s[0:1], 0, v21
	s_waitcnt vmcnt(3)
	ds_swizzle_b32 v17, v17 offset:swizzle(SWAP,16)
	v_cndmask_b32_e64 v25, 12, 28, s[0:1]
	v_cndmask_b32_e64 v32, v6, v2, s[0:1]
	;; [unrolled: 1-line block ×3, first 2 shown]
	s_waitcnt lgkmcnt(0)
	scratch_store_dword v20, v17, off
	scratch_load_dword v17, v24, off
	v_cndmask_b32_e64 v20, 24, 56, vcc
	s_waitcnt vmcnt(3)
	ds_swizzle_b32 v23, v23 offset:swizzle(SWAP,4)
	s_waitcnt vmcnt(2)
	ds_swizzle_b32 v18, v18 offset:swizzle(SWAP,8)
	s_waitcnt lgkmcnt(1)
	scratch_store_dword v22, v23, off
	s_waitcnt lgkmcnt(0)
	scratch_store_dword v19, v18, off
	scratch_load_dword v18, v20, off
	v_cndmask_b32_e64 v19, 4, 20, s[0:1]
	v_cndmask_b32_e32 v22, 64, v6, vcc
	v_cndmask_b32_e64 v23, 28, 60, vcc
	s_waitcnt vmcnt(3)
	ds_swizzle_b32 v17, v17 offset:swizzle(SWAP,16)
	s_waitcnt lgkmcnt(0)
	scratch_store_dword v24, v17, off
	scratch_load_dword v17, v22, off
	s_nop 0
	scratch_load_dword v21, v19, off
	s_waitcnt vmcnt(3)
	ds_swizzle_b32 v18, v18 offset:swizzle(SWAP,8)
	s_waitcnt lgkmcnt(0)
	scratch_store_dword v20, v18, off
	scratch_load_dword v18, v23, off
	v_cndmask_b32_e64 v20, 8, 24, s[0:1]
	s_waitcnt vmcnt(3)
	ds_swizzle_b32 v17, v17 offset:swizzle(SWAP,8)
	s_waitcnt vmcnt(2)
	ds_swizzle_b32 v21, v21 offset:swizzle(SWAP,4)
	s_waitcnt lgkmcnt(1)
	scratch_store_dword v22, v17, off
	s_waitcnt lgkmcnt(0)
	scratch_store_dword v19, v21, off
	v_cndmask_b32_e32 v21, v16, v7, vcc
	scratch_load_dword v17, v21, off
	scratch_load_dword v19, v20, off
	s_waitcnt vmcnt(4)
	ds_swizzle_b32 v18, v18 offset:swizzle(SWAP,8)
	v_and_b32_e32 v22, 2, v1
	v_lshlrev_b32_e32 v24, 2, v22
	v_xor_b32_e32 v24, 8, v24
	v_or_b32_e32 v24, 0, v24
	v_cmp_eq_u32_e64 s[2:3], 0, v22
	v_cndmask_b32_e64 v22, 32, 48, s[0:1]
	v_and_b32_e32 v1, 1, v1
	v_cmp_eq_u32_e64 s[4:5], 0, v1
	v_cndmask_b32_e64 v26, 20, 28, s[2:3]
	v_cndmask_b32_e64 v27, 32, 40, s[2:3]
	;; [unrolled: 1-line block ×9, first 2 shown]
	s_waitcnt vmcnt(1)
	ds_swizzle_b32 v17, v17 offset:swizzle(SWAP,8)
	s_waitcnt vmcnt(0)
	ds_swizzle_b32 v19, v19 offset:swizzle(SWAP,4)
	s_waitcnt lgkmcnt(2)
	scratch_store_dword v23, v18, off
	s_waitcnt lgkmcnt(0)
	scratch_store_dword v20, v19, off
	scratch_load_dword v18, v25, off
	s_nop 0
	scratch_load_dword v19, v24, off
	v_cndmask_b32_e32 v20, v14, v8, vcc
	scratch_store_dword v21, v17, off
	scratch_load_dword v17, v20, off
	v_cndmask_b32_e64 v21, 4, 12, s[2:3]
	scratch_load_dword v23, v22, off
	v_or_b32_e32 v21, 0, v21
	s_waitcnt vmcnt(4)
	ds_swizzle_b32 v18, v18 offset:swizzle(SWAP,4)
	s_waitcnt vmcnt(3)
	ds_swizzle_b32 v19, v19 offset:swizzle(SWAP,2)
	s_waitcnt lgkmcnt(1)
	scratch_store_dword v25, v18, off
	s_waitcnt lgkmcnt(0)
	scratch_store_dword v24, v19, off
	s_waitcnt vmcnt(3)
	ds_swizzle_b32 v17, v17 offset:swizzle(SWAP,8)
	scratch_load_dword v18, v21, off
	v_cndmask_b32_e32 v19, v15, v9, vcc
	v_cndmask_b32_e64 v24, 36, 52, s[0:1]
	v_cndmask_b32_e64 v25, 16, 24, s[2:3]
	s_waitcnt lgkmcnt(0)
	scratch_store_dword v20, v17, off
	s_waitcnt vmcnt(4)
	ds_swizzle_b32 v20, v23 offset:swizzle(SWAP,4)
	v_lshlrev_b32_e32 v23, 2, v1
	v_cndmask_b32_e64 v1, 8, 12, s[4:5]
	v_or_b32_e32 v1, 0, v1
	s_waitcnt lgkmcnt(0)
	scratch_store_dword v22, v20, off
	scratch_load_dword v20, v24, off
	s_nop 0
	scratch_load_dword v17, v19, off
	v_xor_b32_e32 v22, 4, v23
	v_or_b32_e32 v22, 0, v22
	v_cndmask_b32_e32 v23, v10, v2, vcc
	s_waitcnt vmcnt(4)
	ds_swizzle_b32 v18, v18 offset:swizzle(SWAP,2)
	s_waitcnt lgkmcnt(0)
	scratch_store_dword v21, v18, off
	scratch_load_dword v18, v25, off
	s_nop 0
	scratch_load_dword v21, v22, off
	s_waitcnt vmcnt(3)
	ds_swizzle_b32 v17, v17 offset:swizzle(SWAP,8)
	s_waitcnt lgkmcnt(0)
	scratch_store_dword v19, v17, off
	scratch_load_dword v17, v23, off
	ds_swizzle_b32 v19, v20 offset:swizzle(SWAP,4)
	v_cndmask_b32_e64 v20, 40, 56, s[0:1]
	s_waitcnt lgkmcnt(0)
	scratch_store_dword v24, v19, off
	scratch_load_dword v19, v20, off
	s_waitcnt vmcnt(5)
	ds_swizzle_b32 v18, v18 offset:swizzle(SWAP,2)
	s_waitcnt vmcnt(4)
	ds_swizzle_b32 v21, v21 offset:swizzle(SWAP,1)
	s_waitcnt lgkmcnt(1)
	scratch_store_dword v25, v18, off
	scratch_load_dword v18, v26, off
	s_nop 0
	scratch_load_dword v24, v1, off
	v_cndmask_b32_e32 v25, v11, v3, vcc
	s_waitcnt vmcnt(5)
	ds_swizzle_b32 v17, v17 offset:swizzle(SWAP,8)
	s_waitcnt lgkmcnt(0)
	scratch_store_dword v23, v17, off
	scratch_load_dword v17, v25, off
	s_waitcnt vmcnt(5)
	ds_swizzle_b32 v19, v19 offset:swizzle(SWAP,4)
	v_cndmask_b32_e64 v23, 44, 60, s[0:1]
	s_waitcnt lgkmcnt(0)
	scratch_store_dword v20, v19, off
	scratch_load_dword v19, v23, off
	s_nop 0
	scratch_load_dword v20, v27, off
	s_waitcnt vmcnt(6)
	ds_swizzle_b32 v18, v18 offset:swizzle(SWAP,2)
	s_waitcnt vmcnt(5)
	ds_swizzle_b32 v24, v24 offset:swizzle(SWAP,1)
	s_waitcnt lgkmcnt(1)
	scratch_store_dword v26, v18, off
	v_cndmask_b32_e32 v26, v12, v4, vcc
	scratch_load_dword v18, v28, off
	s_waitcnt vmcnt(5)
	ds_swizzle_b32 v17, v17 offset:swizzle(SWAP,8)
	s_waitcnt lgkmcnt(0)
	scratch_store_dword v25, v17, off
	scratch_load_dword v17, v26, off
	v_cndmask_b32_e64 v25, 64, v10, s[0:1]
	scratch_load_dword v29, v25, off
	s_waitcnt vmcnt(6)
	ds_swizzle_b32 v19, v19 offset:swizzle(SWAP,4)
	s_waitcnt vmcnt(5)
	ds_swizzle_b32 v20, v20 offset:swizzle(SWAP,2)
	s_waitcnt lgkmcnt(1)
	scratch_store_dword v23, v19, off
	s_waitcnt lgkmcnt(0)
	scratch_store_dword v27, v20, off
	scratch_load_dword v19, v30, off
	v_cndmask_b32_e64 v20, 24, 28, s[4:5]
	v_cndmask_b32_e32 v27, v13, v5, vcc
	scratch_load_dword v23, v20, off
	s_waitcnt vmcnt(5)
	ds_swizzle_b32 v17, v17 offset:swizzle(SWAP,8)
	s_waitcnt lgkmcnt(0)
	scratch_store_dword v26, v17, off
	scratch_load_dword v17, v27, off
	s_waitcnt vmcnt(6)
	ds_swizzle_b32 v26, v29 offset:swizzle(SWAP,4)
	v_cndmask_b32_e64 v29, v16, v11, s[0:1]
	v_cndmask_b32_e64 v16, 64, v16, s[4:5]
	s_waitcnt lgkmcnt(0)
	scratch_store_dword v25, v26, off
	scratch_load_dword v25, v29, off
	s_waitcnt vmcnt(5)
	ds_swizzle_b32 v19, v19 offset:swizzle(SWAP,2)
	v_cndmask_b32_e64 v26, 48, 56, s[2:3]
	s_waitcnt lgkmcnt(0)
	scratch_store_dword v30, v19, off
	scratch_load_dword v19, v26, off
	s_nop 0
	scratch_load_dword v30, v31, off
	s_waitcnt vmcnt(5)
	ds_swizzle_b32 v17, v17 offset:swizzle(SWAP,8)
	s_waitcnt lgkmcnt(0)
	scratch_store_dword v27, v17, off
	scratch_load_dword v17, v32, off
	s_waitcnt vmcnt(5)
	ds_swizzle_b32 v25, v25 offset:swizzle(SWAP,4)
	v_cndmask_b32_e64 v27, v14, v12, s[0:1]
	s_waitcnt lgkmcnt(0)
	scratch_store_dword v29, v25, off
	scratch_load_dword v25, v27, off
	s_waitcnt vmcnt(5)
	ds_swizzle_b32 v19, v19 offset:swizzle(SWAP,2)
	v_cndmask_b32_e64 v29, 52, 60, s[2:3]
	s_waitcnt lgkmcnt(0)
	scratch_store_dword v26, v19, off
	scratch_load_dword v19, v29, off
	s_nop 0
	scratch_load_dword v26, v33, off
	s_waitcnt vmcnt(5)
	ds_swizzle_b32 v17, v17 offset:swizzle(SWAP,4)
	s_waitcnt lgkmcnt(0)
	scratch_store_dword v32, v17, off
	scratch_load_dword v17, v34, off
	s_waitcnt vmcnt(5)
	ds_swizzle_b32 v25, v25 offset:swizzle(SWAP,4)
	v_cndmask_b32_e64 v32, v15, v13, s[0:1]
	s_waitcnt lgkmcnt(0)
	scratch_store_dword v27, v25, off
	s_waitcnt vmcnt(4)
	ds_swizzle_b32 v19, v19 offset:swizzle(SWAP,2)
	v_cndmask_b32_e64 v27, 64, v14, s[2:3]
	scratch_load_dword v35, v27, off
	v_cndmask_b32_e64 v14, v14, v15, s[4:5]
	s_waitcnt lgkmcnt(0)
	scratch_store_dword v29, v19, off
	scratch_load_dword v19, v38, off
	s_nop 0
	scratch_load_dword v25, v32, off
	v_cndmask_b32_e64 v29, v8, v4, s[0:1]
	s_waitcnt vmcnt(5)
	ds_swizzle_b32 v17, v17 offset:swizzle(SWAP,4)
	s_waitcnt lgkmcnt(0)
	scratch_store_dword v34, v17, off
	scratch_load_dword v17, v29, off
	s_waitcnt vmcnt(5)
	ds_swizzle_b32 v34, v35 offset:swizzle(SWAP,2)
	s_waitcnt vmcnt(3)
	ds_swizzle_b32 v19, v19 offset:swizzle(SWAP,1)
	;; [unrolled: 2-line block ×3, first 2 shown]
	scratch_store_dword v22, v21, off
	scratch_store_dword v1, v24, off
	s_waitcnt lgkmcnt(0)
	scratch_store_dword v32, v25, off
	scratch_store_dword v27, v34, off
	scratch_load_dword v1, v39, off
	scratch_load_dword v21, v40, off
	s_nop 0
	scratch_load_dwordx4 v[34:37], off, off
	v_cndmask_b32_e64 v22, v9, v5, s[0:1]
	v_cndmask_b32_e64 v24, v10, v12, s[2:3]
	;; [unrolled: 1-line block ×8, first 2 shown]
	s_waitcnt vmcnt(7)
	ds_swizzle_b32 v17, v17 offset:swizzle(SWAP,4)
	s_waitcnt lgkmcnt(0)
	scratch_store_dword v29, v17, off
	scratch_load_dword v17, v22, off
	s_nop 0
	scratch_load_dword v27, v24, off
	scratch_load_dword v29, v25, off
	s_waitcnt vmcnt(6)
	ds_swizzle_b32 v1, v1 offset:swizzle(SWAP,2)
	s_waitcnt lgkmcnt(0)
	scratch_store_dword v39, v1, off
	scratch_load_dword v1, v16, off
	v_cndmask_b32_e64 v39, v7, v9, s[2:3]
	v_cndmask_b32_e64 v7, v8, v9, s[4:5]
	s_waitcnt vmcnt(4)
	ds_swizzle_b32 v17, v17 offset:swizzle(SWAP,4)
	s_waitcnt lgkmcnt(0)
	scratch_store_dword v22, v17, off
	scratch_load_dword v17, v32, off
	s_waitcnt vmcnt(5)
	ds_swizzle_b32 v22, v27 offset:swizzle(SWAP,2)
	s_waitcnt vmcnt(4)
	ds_swizzle_b32 v27, v29 offset:swizzle(SWAP,2)
	v_cndmask_b32_e64 v29, v11, v13, s[2:3]
	s_waitcnt lgkmcnt(1)
	scratch_store_dword v24, v22, off
	s_waitcnt lgkmcnt(0)
	scratch_store_dword v25, v27, off
	scratch_load_dword v22, v29, off
	scratch_load_dword v24, v39, off
	v_cndmask_b32_e64 v25, v3, v5, s[2:3]
	scratch_load_dword v15, v14, off
	v_cndmask_b32_e64 v3, v4, v5, s[4:5]
	s_waitcnt vmcnt(7)
	ds_swizzle_b32 v1, v1 offset:swizzle(SWAP,1)
	s_waitcnt vmcnt(5)
	ds_swizzle_b32 v17, v17 offset:swizzle(SWAP,2)
	s_waitcnt lgkmcnt(0)
	scratch_store_dword v32, v17, off
	scratch_load_dword v17, v25, off
	s_waitcnt vmcnt(4)
	ds_swizzle_b32 v11, v22 offset:swizzle(SWAP,2)
	s_waitcnt vmcnt(3)
	ds_swizzle_b32 v22, v24 offset:swizzle(SWAP,2)
	s_waitcnt lgkmcnt(1)
	scratch_store_dword v29, v11, off
	s_waitcnt lgkmcnt(0)
	scratch_store_dword v39, v22, off
	scratch_load_dword v8, v10, off
	scratch_load_dword v9, v12, off
	;; [unrolled: 1-line block ×4, first 2 shown]
	ds_swizzle_b32 v22, v26 offset:swizzle(SWAP,1)
	s_waitcnt vmcnt(8)
	ds_swizzle_b32 v15, v15 offset:swizzle(SWAP,1)
	s_waitcnt vmcnt(6)
	ds_swizzle_b32 v17, v17 offset:swizzle(SWAP,2)
	s_waitcnt lgkmcnt(0)
	scratch_store_dword v25, v17, off
	scratch_load_dword v4, v2, off
	scratch_load_dword v5, v3, off
	ds_swizzle_b32 v17, v18 offset:swizzle(SWAP,1)
	ds_swizzle_b32 v18, v23 offset:swizzle(SWAP,1)
	s_waitcnt lgkmcnt(1)
	scratch_store_dword v28, v17, off
	ds_swizzle_b32 v17, v30 offset:swizzle(SWAP,1)
	s_waitcnt lgkmcnt(1)
	scratch_store_dword v20, v18, off
	;; [unrolled: 3-line block ×3, first 2 shown]
	scratch_store_dword v33, v22, off
	scratch_store_dword v38, v19, off
	s_waitcnt lgkmcnt(0)
	scratch_store_dword v40, v18, off
	scratch_load_dwordx4 v[38:41], off, off offset:32
	s_nop 0
	scratch_load_dwordx4 v[42:45], off, off offset:48
	s_nop 0
	scratch_store_dword v16, v1, off
	s_waitcnt vmcnt(15)
	ds_swizzle_b32 v1, v8 offset:swizzle(SWAP,1)
	s_waitcnt vmcnt(14)
	ds_swizzle_b32 v8, v9 offset:swizzle(SWAP,1)
	s_waitcnt vmcnt(13)
	ds_swizzle_b32 v9, v11 offset:swizzle(SWAP,1)
	s_waitcnt vmcnt(12)
	ds_swizzle_b32 v11, v13 offset:swizzle(SWAP,1)
	scratch_store_dword v14, v15, off
	s_waitcnt lgkmcnt(3)
	scratch_store_dword v10, v1, off
	s_waitcnt lgkmcnt(2)
	scratch_store_dword v12, v8, off
	s_waitcnt lgkmcnt(1)
	scratch_store_dword v6, v9, off
	scratch_load_dwordx4 v[54:57], off, off offset:16
	s_waitcnt vmcnt(15)
	ds_swizzle_b32 v1, v4 offset:swizzle(SWAP,1)
	s_waitcnt vmcnt(14)
	ds_swizzle_b32 v4, v5 offset:swizzle(SWAP,1)
	s_waitcnt lgkmcnt(2)
	scratch_store_dword v7, v11, off
	scratch_load_dwordx4 v[46:49], off, off offset:64
	scratch_load_dwordx4 v[50:53], off, off offset:80
	s_waitcnt lgkmcnt(1)
	scratch_store_dword v2, v1, off
	s_waitcnt lgkmcnt(0)
	scratch_store_dword v3, v4, off
	scratch_load_dwordx4 v[58:61], off, off offset:96
	scratch_load_dwordx4 v[62:65], off, off offset:112
.LBB8_4:
	v_lshlrev_b32_e32 v0, 2, v0
	global_store_dwordx4 v0, v[34:37], s[6:7]
	s_waitcnt vmcnt(7)
	global_store_dwordx4 v0, v[54:57], s[6:7] offset:16
	global_store_dwordx4 v0, v[38:41], s[6:7] offset:32
	;; [unrolled: 1-line block ×3, first 2 shown]
	s_waitcnt vmcnt(9)
	global_store_dwordx4 v0, v[46:49], s[6:7] offset:64
	s_waitcnt vmcnt(9)
	global_store_dwordx4 v0, v[50:53], s[6:7] offset:80
	;; [unrolled: 2-line block ×4, first 2 shown]
	s_endpgm
	.section	.rodata,"a",@progbits
	.p2align	6, 0x0
	.amdhsa_kernel _Z20warp_exchange_kernelILj32ELj32EN6common25StripedToBlockedShuffleOpEfEvPT2_S3_b
		.amdhsa_group_segment_fixed_size 0
		.amdhsa_private_segment_fixed_size 144
		.amdhsa_kernarg_size 20
		.amdhsa_user_sgpr_count 2
		.amdhsa_user_sgpr_dispatch_ptr 0
		.amdhsa_user_sgpr_queue_ptr 0
		.amdhsa_user_sgpr_kernarg_segment_ptr 1
		.amdhsa_user_sgpr_dispatch_id 0
		.amdhsa_user_sgpr_kernarg_preload_length 0
		.amdhsa_user_sgpr_kernarg_preload_offset 0
		.amdhsa_user_sgpr_private_segment_size 0
		.amdhsa_uses_dynamic_stack 0
		.amdhsa_enable_private_segment 1
		.amdhsa_system_sgpr_workgroup_id_x 1
		.amdhsa_system_sgpr_workgroup_id_y 0
		.amdhsa_system_sgpr_workgroup_id_z 0
		.amdhsa_system_sgpr_workgroup_info 0
		.amdhsa_system_vgpr_workitem_id 0
		.amdhsa_next_free_vgpr 76
		.amdhsa_next_free_sgpr 8
		.amdhsa_accum_offset 76
		.amdhsa_reserve_vcc 1
		.amdhsa_float_round_mode_32 0
		.amdhsa_float_round_mode_16_64 0
		.amdhsa_float_denorm_mode_32 3
		.amdhsa_float_denorm_mode_16_64 3
		.amdhsa_dx10_clamp 1
		.amdhsa_ieee_mode 1
		.amdhsa_fp16_overflow 0
		.amdhsa_tg_split 0
		.amdhsa_exception_fp_ieee_invalid_op 0
		.amdhsa_exception_fp_denorm_src 0
		.amdhsa_exception_fp_ieee_div_zero 0
		.amdhsa_exception_fp_ieee_overflow 0
		.amdhsa_exception_fp_ieee_underflow 0
		.amdhsa_exception_fp_ieee_inexact 0
		.amdhsa_exception_int_div_zero 0
	.end_amdhsa_kernel
	.section	.text._Z20warp_exchange_kernelILj32ELj32EN6common25StripedToBlockedShuffleOpEfEvPT2_S3_b,"axG",@progbits,_Z20warp_exchange_kernelILj32ELj32EN6common25StripedToBlockedShuffleOpEfEvPT2_S3_b,comdat
.Lfunc_end8:
	.size	_Z20warp_exchange_kernelILj32ELj32EN6common25StripedToBlockedShuffleOpEfEvPT2_S3_b, .Lfunc_end8-_Z20warp_exchange_kernelILj32ELj32EN6common25StripedToBlockedShuffleOpEfEvPT2_S3_b
                                        ; -- End function
	.section	.AMDGPU.csdata,"",@progbits
; Kernel info:
; codeLenInByte = 7160
; NumSgprs: 14
; NumVgprs: 76
; NumAgprs: 0
; TotalNumVgprs: 76
; ScratchSize: 144
; MemoryBound: 1
; FloatMode: 240
; IeeeMode: 1
; LDSByteSize: 0 bytes/workgroup (compile time only)
; SGPRBlocks: 1
; VGPRBlocks: 9
; NumSGPRsForWavesPerEU: 14
; NumVGPRsForWavesPerEU: 76
; AccumOffset: 76
; Occupancy: 6
; WaveLimiterHint : 0
; COMPUTE_PGM_RSRC2:SCRATCH_EN: 1
; COMPUTE_PGM_RSRC2:USER_SGPR: 2
; COMPUTE_PGM_RSRC2:TRAP_HANDLER: 0
; COMPUTE_PGM_RSRC2:TGID_X_EN: 1
; COMPUTE_PGM_RSRC2:TGID_Y_EN: 0
; COMPUTE_PGM_RSRC2:TGID_Z_EN: 0
; COMPUTE_PGM_RSRC2:TIDIG_COMP_CNT: 0
; COMPUTE_PGM_RSRC3_GFX90A:ACCUM_OFFSET: 18
; COMPUTE_PGM_RSRC3_GFX90A:TG_SPLIT: 0
	.section	.text._Z20warp_exchange_kernelILj8ELj8EN6common25StripedToBlockedShuffleOpElEvPT2_S3_b,"axG",@progbits,_Z20warp_exchange_kernelILj8ELj8EN6common25StripedToBlockedShuffleOpElEvPT2_S3_b,comdat
	.protected	_Z20warp_exchange_kernelILj8ELj8EN6common25StripedToBlockedShuffleOpElEvPT2_S3_b ; -- Begin function _Z20warp_exchange_kernelILj8ELj8EN6common25StripedToBlockedShuffleOpElEvPT2_S3_b
	.globl	_Z20warp_exchange_kernelILj8ELj8EN6common25StripedToBlockedShuffleOpElEvPT2_S3_b
	.p2align	8
	.type	_Z20warp_exchange_kernelILj8ELj8EN6common25StripedToBlockedShuffleOpElEvPT2_S3_b,@function
_Z20warp_exchange_kernelILj8ELj8EN6common25StripedToBlockedShuffleOpElEvPT2_S3_b: ; @_Z20warp_exchange_kernelILj8ELj8EN6common25StripedToBlockedShuffleOpElEvPT2_S3_b
; %bb.0:
	s_load_dwordx4 s[4:7], s[0:1], 0x0
	s_load_dword s2, s[0:1], 0x10
	v_lshlrev_b32_e32 v1, 6, v0
	v_lshlrev_b32_e32 v0, 3, v0
	s_waitcnt lgkmcnt(0)
	global_load_dwordx4 v[2:5], v1, s[4:5] offset:48
	global_load_dwordx4 v[6:9], v1, s[4:5] offset:32
	;; [unrolled: 1-line block ×3, first 2 shown]
	global_load_dwordx4 v[14:17], v1, s[4:5]
	v_mbcnt_lo_u32_b32 v1, -1, 0
	v_mbcnt_hi_u32_b32 v1, -1, v1
	v_and_b32_e32 v18, 4, v1
	v_lshlrev_b32_e32 v19, 3, v18
	v_cmp_eq_u32_e32 vcc, 0, v18
	s_bitcmp0_b32 s2, 0
	v_xor_b32_e32 v38, 32, v19
	v_cndmask_b32_e64 v37, 8, 40, vcc
	v_cndmask_b32_e64 v36, 16, 48, vcc
	;; [unrolled: 1-line block ×3, first 2 shown]
	v_and_b32_e32 v35, 2, v1
	v_and_b32_e32 v1, 1, v1
	s_cbranch_scc0 .LBB9_2
; %bb.1:
	s_waitcnt vmcnt(0)
	scratch_store_dwordx4 off, v[14:17], off
	scratch_store_dwordx4 off, v[10:13], off offset:16
	scratch_store_dwordx4 off, v[6:9], off offset:32
	scratch_load_dwordx2 v[18:19], v38, off
	v_lshlrev_b32_e32 v20, 3, v35
	v_xor_b32_e32 v22, 16, v20
	v_cmp_eq_u32_e32 vcc, 0, v35
	s_waitcnt vmcnt(0)
	ds_swizzle_b32 v18, v18 offset:swizzle(SWAP,4)
	ds_swizzle_b32 v19, v19 offset:swizzle(SWAP,4)
	v_cndmask_b32_e64 v24, 32, 48, vcc
	v_cndmask_b32_e64 v23, 8, 24, vcc
	;; [unrolled: 1-line block ×3, first 2 shown]
	v_cmp_eq_u32_e32 vcc, 0, v1
	s_waitcnt lgkmcnt(0)
	scratch_store_dwordx2 v38, v[18:19], off
	scratch_load_dwordx2 v[18:19], v37, off
	v_cndmask_b32_e64 v30, 16, 24, vcc
	v_cndmask_b32_e64 v31, 32, 40, vcc
	;; [unrolled: 1-line block ×3, first 2 shown]
	s_waitcnt vmcnt(0)
	ds_swizzle_b32 v18, v18 offset:swizzle(SWAP,4)
	ds_swizzle_b32 v19, v19 offset:swizzle(SWAP,4)
	scratch_store_dwordx4 off, v[2:5], off offset:48
	s_waitcnt lgkmcnt(0)
	scratch_store_dwordx2 v37, v[18:19], off
	scratch_load_dwordx2 v[18:19], v36, off
	s_waitcnt vmcnt(0)
	ds_swizzle_b32 v18, v18 offset:swizzle(SWAP,4)
	ds_swizzle_b32 v19, v19 offset:swizzle(SWAP,4)
	s_waitcnt lgkmcnt(0)
	scratch_store_dwordx2 v36, v[18:19], off
	scratch_load_dwordx2 v[18:19], v34, off
	s_nop 0
	scratch_load_dwordx2 v[20:21], v22, off
	s_waitcnt vmcnt(1)
	ds_swizzle_b32 v18, v18 offset:swizzle(SWAP,4)
	ds_swizzle_b32 v19, v19 offset:swizzle(SWAP,4)
	s_waitcnt lgkmcnt(0)
	scratch_store_dwordx2 v34, v[18:19], off
	scratch_load_dwordx2 v[18:19], v24, off
	s_waitcnt vmcnt(2)
	ds_swizzle_b32 v20, v20 offset:swizzle(SWAP,2)
	ds_swizzle_b32 v21, v21 offset:swizzle(SWAP,2)
	s_waitcnt lgkmcnt(0)
	scratch_store_dwordx2 v22, v[20:21], off
	scratch_load_dwordx2 v[20:21], v23, off
	v_lshlrev_b32_e32 v22, 3, v1
	v_xor_b32_e32 v22, 8, v22
	v_or_b32_e32 v26, 0, v22
	s_waitcnt vmcnt(2)
	ds_swizzle_b32 v18, v18 offset:swizzle(SWAP,2)
	ds_swizzle_b32 v19, v19 offset:swizzle(SWAP,2)
	s_waitcnt lgkmcnt(0)
	scratch_store_dwordx2 v24, v[18:19], off
	scratch_load_dwordx2 v[18:19], v25, off
	s_waitcnt vmcnt(2)
	ds_swizzle_b32 v20, v20 offset:swizzle(SWAP,2)
	ds_swizzle_b32 v21, v21 offset:swizzle(SWAP,2)
	s_waitcnt lgkmcnt(0)
	scratch_store_dwordx2 v23, v[20:21], off
	scratch_load_dwordx2 v[20:21], v26, off
	s_nop 0
	scratch_load_dwordx2 v[22:23], v30, off
	s_waitcnt vmcnt(3)
	ds_swizzle_b32 v18, v18 offset:swizzle(SWAP,2)
	ds_swizzle_b32 v19, v19 offset:swizzle(SWAP,2)
	s_waitcnt lgkmcnt(0)
	scratch_store_dwordx2 v25, v[18:19], off
	scratch_load_dwordx2 v[18:19], v31, off
	s_nop 0
	scratch_load_dwordx2 v[24:25], v32, off
	s_waitcnt vmcnt(4)
	ds_swizzle_b32 v20, v20 offset:swizzle(SWAP,1)
	ds_swizzle_b32 v21, v21 offset:swizzle(SWAP,1)
	s_waitcnt vmcnt(3)
	ds_swizzle_b32 v22, v22 offset:swizzle(SWAP,1)
	ds_swizzle_b32 v23, v23 offset:swizzle(SWAP,1)
	s_waitcnt lgkmcnt(2)
	scratch_store_dwordx2 v26, v[20:21], off
	s_waitcnt lgkmcnt(0)
	scratch_store_dwordx2 v30, v[22:23], off
	s_waitcnt vmcnt(3)
	ds_swizzle_b32 v26, v18 offset:swizzle(SWAP,1)
	ds_swizzle_b32 v27, v19 offset:swizzle(SWAP,1)
	s_waitcnt vmcnt(2)
	ds_swizzle_b32 v28, v24 offset:swizzle(SWAP,1)
	ds_swizzle_b32 v29, v25 offset:swizzle(SWAP,1)
	scratch_load_dwordx4 v[18:21], off, off
	scratch_load_dwordx4 v[22:25], off, off offset:16
	s_waitcnt lgkmcnt(2)
	scratch_store_dwordx2 v31, v[26:27], off
	s_waitcnt lgkmcnt(0)
	scratch_store_dwordx2 v32, v[28:29], off
	scratch_load_dwordx4 v[26:29], off, off offset:32
	s_nop 0
	scratch_load_dwordx4 v[30:33], off, off offset:48
	s_cbranch_execz .LBB9_3
	s_branch .LBB9_4
.LBB9_2:
                                        ; implicit-def: $vgpr32_vgpr33
                                        ; implicit-def: $vgpr28_vgpr29
                                        ; implicit-def: $vgpr24_vgpr25
                                        ; implicit-def: $vgpr20_vgpr21
.LBB9_3:
	s_waitcnt vmcnt(0)
	scratch_store_dwordx4 off, v[14:17], off
	scratch_store_dwordx4 off, v[10:13], off offset:16
	scratch_store_dwordx4 off, v[6:9], off offset:32
	scratch_load_dwordx2 v[6:7], v38, off
	v_cmp_eq_u32_e32 vcc, 0, v35
	s_waitcnt vmcnt(0)
	ds_swizzle_b32 v6, v6 offset:swizzle(SWAP,4)
	ds_swizzle_b32 v7, v7 offset:swizzle(SWAP,4)
	v_cndmask_b32_e64 v8, 32, 48, vcc
	v_cndmask_b32_e64 v9, 40, 56, vcc
	s_waitcnt lgkmcnt(0)
	scratch_store_dwordx2 v38, v[6:7], off
	scratch_load_dwordx2 v[6:7], v37, off
	s_waitcnt vmcnt(0)
	ds_swizzle_b32 v6, v6 offset:swizzle(SWAP,4)
	ds_swizzle_b32 v7, v7 offset:swizzle(SWAP,4)
	scratch_store_dwordx4 off, v[2:5], off offset:48
	s_waitcnt lgkmcnt(0)
	scratch_store_dwordx2 v37, v[6:7], off
	scratch_load_dwordx2 v[2:3], v36, off
	v_lshlrev_b32_e32 v4, 3, v35
	v_xor_b32_e32 v6, 16, v4
	v_cndmask_b32_e64 v7, 8, 24, vcc
	v_cmp_eq_u32_e32 vcc, 0, v1
	s_waitcnt vmcnt(0)
	ds_swizzle_b32 v2, v2 offset:swizzle(SWAP,4)
	ds_swizzle_b32 v3, v3 offset:swizzle(SWAP,4)
	v_cndmask_b32_e64 v11, 32, 40, vcc
	v_cndmask_b32_e64 v12, 48, 56, vcc
	s_waitcnt lgkmcnt(0)
	scratch_store_dwordx2 v36, v[2:3], off
	scratch_load_dwordx2 v[2:3], v34, off
	s_nop 0
	scratch_load_dwordx2 v[4:5], v6, off
	s_waitcnt vmcnt(1)
	ds_swizzle_b32 v2, v2 offset:swizzle(SWAP,4)
	ds_swizzle_b32 v3, v3 offset:swizzle(SWAP,4)
	s_waitcnt vmcnt(0)
	ds_swizzle_b32 v4, v4 offset:swizzle(SWAP,2)
	ds_swizzle_b32 v5, v5 offset:swizzle(SWAP,2)
	s_waitcnt lgkmcnt(2)
	scratch_store_dwordx2 v34, v[2:3], off
	scratch_load_dwordx2 v[2:3], v8, off
	s_waitcnt lgkmcnt(0)
	scratch_store_dwordx2 v6, v[4:5], off
	scratch_load_dwordx2 v[4:5], v7, off
	v_lshlrev_b32_e32 v6, 3, v1
	v_xor_b32_e32 v6, 8, v6
	v_or_b32_e32 v10, 0, v6
	v_cndmask_b32_e64 v1, 16, 24, vcc
	s_waitcnt vmcnt(0)
	ds_swizzle_b32 v4, v4 offset:swizzle(SWAP,2)
	ds_swizzle_b32 v5, v5 offset:swizzle(SWAP,2)
	s_waitcnt lgkmcnt(0)
	scratch_store_dwordx2 v7, v[4:5], off
	scratch_load_dwordx2 v[4:5], v10, off
	s_nop 0
	scratch_load_dwordx2 v[6:7], v1, off
	ds_swizzle_b32 v2, v2 offset:swizzle(SWAP,2)
	ds_swizzle_b32 v3, v3 offset:swizzle(SWAP,2)
	s_waitcnt lgkmcnt(0)
	scratch_store_dwordx2 v8, v[2:3], off
	scratch_load_dwordx2 v[2:3], v9, off
	s_waitcnt vmcnt(3)
	ds_swizzle_b32 v4, v4 offset:swizzle(SWAP,1)
	ds_swizzle_b32 v5, v5 offset:swizzle(SWAP,1)
	s_waitcnt vmcnt(2)
	ds_swizzle_b32 v6, v6 offset:swizzle(SWAP,1)
	ds_swizzle_b32 v7, v7 offset:swizzle(SWAP,1)
	s_waitcnt lgkmcnt(2)
	scratch_store_dwordx2 v10, v[4:5], off
	s_waitcnt lgkmcnt(0)
	scratch_store_dwordx2 v1, v[6:7], off
	s_waitcnt vmcnt(2)
	ds_swizzle_b32 v2, v2 offset:swizzle(SWAP,2)
	ds_swizzle_b32 v3, v3 offset:swizzle(SWAP,2)
	s_waitcnt lgkmcnt(0)
	scratch_store_dwordx2 v9, v[2:3], off
	scratch_load_dwordx2 v[2:3], v11, off
	s_nop 0
	scratch_load_dwordx2 v[8:9], v12, off
	scratch_load_dwordx4 v[18:21], off, off
	scratch_load_dwordx4 v[22:25], off, off offset:16
	s_waitcnt vmcnt(3)
	ds_swizzle_b32 v2, v2 offset:swizzle(SWAP,1)
	ds_swizzle_b32 v3, v3 offset:swizzle(SWAP,1)
	s_waitcnt vmcnt(2)
	ds_swizzle_b32 v4, v8 offset:swizzle(SWAP,1)
	ds_swizzle_b32 v5, v9 offset:swizzle(SWAP,1)
	s_waitcnt lgkmcnt(2)
	scratch_store_dwordx2 v11, v[2:3], off
	s_waitcnt lgkmcnt(0)
	scratch_store_dwordx2 v12, v[4:5], off
	scratch_load_dwordx4 v[26:29], off, off offset:32
	scratch_load_dwordx4 v[30:33], off, off offset:48
.LBB9_4:
	v_lshlrev_b32_e32 v0, 3, v0
	s_waitcnt vmcnt(5)
	global_store_dwordx4 v0, v[18:21], s[6:7]
	s_waitcnt vmcnt(5)
	global_store_dwordx4 v0, v[22:25], s[6:7] offset:16
	s_waitcnt vmcnt(3)
	global_store_dwordx4 v0, v[26:29], s[6:7] offset:32
	;; [unrolled: 2-line block ×3, first 2 shown]
	s_endpgm
	.section	.rodata,"a",@progbits
	.p2align	6, 0x0
	.amdhsa_kernel _Z20warp_exchange_kernelILj8ELj8EN6common25StripedToBlockedShuffleOpElEvPT2_S3_b
		.amdhsa_group_segment_fixed_size 0
		.amdhsa_private_segment_fixed_size 80
		.amdhsa_kernarg_size 20
		.amdhsa_user_sgpr_count 2
		.amdhsa_user_sgpr_dispatch_ptr 0
		.amdhsa_user_sgpr_queue_ptr 0
		.amdhsa_user_sgpr_kernarg_segment_ptr 1
		.amdhsa_user_sgpr_dispatch_id 0
		.amdhsa_user_sgpr_kernarg_preload_length 0
		.amdhsa_user_sgpr_kernarg_preload_offset 0
		.amdhsa_user_sgpr_private_segment_size 0
		.amdhsa_uses_dynamic_stack 0
		.amdhsa_enable_private_segment 1
		.amdhsa_system_sgpr_workgroup_id_x 1
		.amdhsa_system_sgpr_workgroup_id_y 0
		.amdhsa_system_sgpr_workgroup_id_z 0
		.amdhsa_system_sgpr_workgroup_info 0
		.amdhsa_system_vgpr_workitem_id 0
		.amdhsa_next_free_vgpr 39
		.amdhsa_next_free_sgpr 8
		.amdhsa_accum_offset 40
		.amdhsa_reserve_vcc 1
		.amdhsa_float_round_mode_32 0
		.amdhsa_float_round_mode_16_64 0
		.amdhsa_float_denorm_mode_32 3
		.amdhsa_float_denorm_mode_16_64 3
		.amdhsa_dx10_clamp 1
		.amdhsa_ieee_mode 1
		.amdhsa_fp16_overflow 0
		.amdhsa_tg_split 0
		.amdhsa_exception_fp_ieee_invalid_op 0
		.amdhsa_exception_fp_denorm_src 0
		.amdhsa_exception_fp_ieee_div_zero 0
		.amdhsa_exception_fp_ieee_overflow 0
		.amdhsa_exception_fp_ieee_underflow 0
		.amdhsa_exception_fp_ieee_inexact 0
		.amdhsa_exception_int_div_zero 0
	.end_amdhsa_kernel
	.section	.text._Z20warp_exchange_kernelILj8ELj8EN6common25StripedToBlockedShuffleOpElEvPT2_S3_b,"axG",@progbits,_Z20warp_exchange_kernelILj8ELj8EN6common25StripedToBlockedShuffleOpElEvPT2_S3_b,comdat
.Lfunc_end9:
	.size	_Z20warp_exchange_kernelILj8ELj8EN6common25StripedToBlockedShuffleOpElEvPT2_S3_b, .Lfunc_end9-_Z20warp_exchange_kernelILj8ELj8EN6common25StripedToBlockedShuffleOpElEvPT2_S3_b
                                        ; -- End function
	.section	.AMDGPU.csdata,"",@progbits
; Kernel info:
; codeLenInByte = 1468
; NumSgprs: 14
; NumVgprs: 39
; NumAgprs: 0
; TotalNumVgprs: 39
; ScratchSize: 80
; MemoryBound: 1
; FloatMode: 240
; IeeeMode: 1
; LDSByteSize: 0 bytes/workgroup (compile time only)
; SGPRBlocks: 1
; VGPRBlocks: 4
; NumSGPRsForWavesPerEU: 14
; NumVGPRsForWavesPerEU: 39
; AccumOffset: 40
; Occupancy: 8
; WaveLimiterHint : 0
; COMPUTE_PGM_RSRC2:SCRATCH_EN: 1
; COMPUTE_PGM_RSRC2:USER_SGPR: 2
; COMPUTE_PGM_RSRC2:TRAP_HANDLER: 0
; COMPUTE_PGM_RSRC2:TGID_X_EN: 1
; COMPUTE_PGM_RSRC2:TGID_Y_EN: 0
; COMPUTE_PGM_RSRC2:TGID_Z_EN: 0
; COMPUTE_PGM_RSRC2:TIDIG_COMP_CNT: 0
; COMPUTE_PGM_RSRC3_GFX90A:ACCUM_OFFSET: 9
; COMPUTE_PGM_RSRC3_GFX90A:TG_SPLIT: 0
	.section	.text._Z20warp_exchange_kernelILj32ELj32EN6common25StripedToBlockedShuffleOpEsEvPT2_S3_b,"axG",@progbits,_Z20warp_exchange_kernelILj32ELj32EN6common25StripedToBlockedShuffleOpEsEvPT2_S3_b,comdat
	.protected	_Z20warp_exchange_kernelILj32ELj32EN6common25StripedToBlockedShuffleOpEsEvPT2_S3_b ; -- Begin function _Z20warp_exchange_kernelILj32ELj32EN6common25StripedToBlockedShuffleOpEsEvPT2_S3_b
	.globl	_Z20warp_exchange_kernelILj32ELj32EN6common25StripedToBlockedShuffleOpEsEvPT2_S3_b
	.p2align	8
	.type	_Z20warp_exchange_kernelILj32ELj32EN6common25StripedToBlockedShuffleOpEsEvPT2_S3_b,@function
_Z20warp_exchange_kernelILj32ELj32EN6common25StripedToBlockedShuffleOpEsEvPT2_S3_b: ; @_Z20warp_exchange_kernelILj32ELj32EN6common25StripedToBlockedShuffleOpEsEvPT2_S3_b
; %bb.0:
	s_load_dwordx4 s[4:7], s[0:1], 0x0
	s_load_dword s2, s[0:1], 0x10
	v_lshlrev_b32_e32 v1, 6, v0
	v_lshlrev_b32_e32 v0, 5, v0
	s_waitcnt lgkmcnt(0)
	global_load_dwordx4 v[14:17], v1, s[4:5]
	global_load_dwordx4 v[10:13], v1, s[4:5] offset:16
	global_load_dwordx4 v[6:9], v1, s[4:5] offset:32
	;; [unrolled: 1-line block ×3, first 2 shown]
	v_mbcnt_lo_u32_b32 v1, -1, 0
	s_bitcmp0_b32 s2, 0
	v_mbcnt_hi_u32_b32 v1, -1, v1
	s_cbranch_scc0 .LBB10_2
; %bb.1:
	v_and_b32_e32 v18, 16, v1
	v_lshlrev_b32_e32 v19, 1, v18
	s_waitcnt vmcnt(3)
	scratch_store_dwordx4 off, v[14:17], off
	s_waitcnt vmcnt(3)
	scratch_store_dwordx4 off, v[10:13], off offset:16
	s_waitcnt vmcnt(3)
	scratch_store_dwordx4 off, v[6:9], off offset:32
	v_xor_b32_e32 v19, 32, v19
	scratch_load_ushort v20, v19, off
	v_cmp_eq_u32_e32 vcc, 0, v18
	s_waitcnt vmcnt(4)
	scratch_store_dwordx4 off, v[2:5], off offset:48
	s_waitcnt vmcnt(1)
	ds_swizzle_b32 v20, v20 offset:swizzle(SWAP,16)
	v_cndmask_b32_e64 v18, 2, 34, vcc
	v_cndmask_b32_e64 v23, 20, 52, vcc
	;; [unrolled: 1-line block ×3, first 2 shown]
	s_waitcnt lgkmcnt(0)
	scratch_store_short v19, v20, off
	scratch_load_ushort v19, v18, off
	v_cndmask_b32_e64 v20, 4, 36, vcc
	s_waitcnt vmcnt(0)
	ds_swizzle_b32 v19, v19 offset:swizzle(SWAP,16)
	s_waitcnt lgkmcnt(0)
	scratch_store_short v18, v19, off
	scratch_load_ushort v18, v20, off
	v_cndmask_b32_e64 v19, 6, 38, vcc
	s_waitcnt vmcnt(0)
	ds_swizzle_b32 v18, v18 offset:swizzle(SWAP,16)
	s_waitcnt lgkmcnt(0)
	scratch_store_short v20, v18, off
	scratch_load_ushort v18, v19, off
	v_cndmask_b32_e64 v20, 8, 40, vcc
	s_waitcnt vmcnt(0)
	ds_swizzle_b32 v18, v18 offset:swizzle(SWAP,16)
	s_waitcnt lgkmcnt(0)
	scratch_store_short v19, v18, off
	scratch_load_ushort v18, v20, off
	v_cndmask_b32_e64 v19, 10, 42, vcc
	s_waitcnt vmcnt(0)
	ds_swizzle_b32 v18, v18 offset:swizzle(SWAP,16)
	s_waitcnt lgkmcnt(0)
	scratch_store_short v20, v18, off
	scratch_load_ushort v18, v19, off
	v_cndmask_b32_e64 v20, 12, 44, vcc
	s_waitcnt vmcnt(0)
	ds_swizzle_b32 v18, v18 offset:swizzle(SWAP,16)
	s_waitcnt lgkmcnt(0)
	scratch_store_short v19, v18, off
	scratch_load_ushort v18, v20, off
	v_cndmask_b32_e64 v19, 14, 46, vcc
	s_waitcnt vmcnt(0)
	ds_swizzle_b32 v18, v18 offset:swizzle(SWAP,16)
	s_waitcnt lgkmcnt(0)
	scratch_store_short v20, v18, off
	scratch_load_ushort v18, v19, off
	v_cndmask_b32_e64 v20, 16, 48, vcc
	s_waitcnt vmcnt(0)
	ds_swizzle_b32 v18, v18 offset:swizzle(SWAP,16)
	s_waitcnt lgkmcnt(0)
	scratch_store_short v19, v18, off
	scratch_load_ushort v18, v20, off
	v_cndmask_b32_e64 v19, 18, 50, vcc
	s_waitcnt vmcnt(0)
	ds_swizzle_b32 v18, v18 offset:swizzle(SWAP,16)
	s_waitcnt lgkmcnt(0)
	scratch_store_short v20, v18, off
	scratch_load_ushort v18, v19, off
	v_and_b32_e32 v20, 8, v1
	v_lshlrev_b32_e32 v21, 1, v20
	v_xor_b32_e32 v21, 16, v21
	scratch_load_ushort v22, v21, off
	v_cmp_eq_u32_e64 s[0:1], 0, v20
	s_waitcnt vmcnt(1)
	ds_swizzle_b32 v18, v18 offset:swizzle(SWAP,16)
	v_cndmask_b32_e64 v20, 2, 18, s[0:1]
	s_waitcnt lgkmcnt(0)
	scratch_store_short v19, v18, off
	scratch_load_ushort v18, v23, off
	s_waitcnt vmcnt(2)
	ds_swizzle_b32 v19, v22 offset:swizzle(SWAP,8)
	v_cndmask_b32_e64 v22, 4, 20, s[0:1]
	s_waitcnt lgkmcnt(0)
	scratch_store_short v21, v19, off
	scratch_load_ushort v19, v20, off
	v_cndmask_b32_e64 v21, 22, 54, vcc
	s_waitcnt vmcnt(2)
	ds_swizzle_b32 v18, v18 offset:swizzle(SWAP,16)
	s_waitcnt lgkmcnt(0)
	scratch_store_short v23, v18, off
	scratch_load_ushort v18, v21, off
	s_waitcnt vmcnt(2)
	ds_swizzle_b32 v19, v19 offset:swizzle(SWAP,8)
	s_waitcnt lgkmcnt(0)
	scratch_store_short v20, v19, off
	scratch_load_ushort v19, v22, off
	v_cndmask_b32_e64 v20, 24, 56, vcc
	s_waitcnt vmcnt(2)
	ds_swizzle_b32 v18, v18 offset:swizzle(SWAP,16)
	s_waitcnt lgkmcnt(0)
	scratch_store_short v21, v18, off
	scratch_load_ushort v18, v20, off
	s_waitcnt vmcnt(2)
	ds_swizzle_b32 v19, v19 offset:swizzle(SWAP,8)
	v_cndmask_b32_e64 v21, 6, 22, s[0:1]
	s_waitcnt lgkmcnt(0)
	scratch_store_short v22, v19, off
	scratch_load_ushort v19, v21, off
	v_cndmask_b32_e64 v22, 26, 58, vcc
	s_waitcnt vmcnt(2)
	ds_swizzle_b32 v18, v18 offset:swizzle(SWAP,16)
	s_waitcnt lgkmcnt(0)
	scratch_store_short v20, v18, off
	scratch_load_ushort v18, v22, off
	s_waitcnt vmcnt(2)
	ds_swizzle_b32 v19, v19 offset:swizzle(SWAP,8)
	v_cndmask_b32_e64 v20, 8, 24, s[0:1]
	;; [unrolled: 12-line block ×3, first 2 shown]
	s_waitcnt lgkmcnt(0)
	scratch_store_short v20, v19, off
	scratch_load_ushort v19, v22, off
	v_and_b32_e32 v20, 4, v1
	v_lshlrev_b32_e32 v23, 1, v20
	v_xor_b32_e32 v23, 8, v23
	v_or_b32_e32 v23, 0, v23
	scratch_load_ushort v24, v23, off
	v_cmp_eq_u32_e32 vcc, 0, v20
	s_waitcnt vmcnt(3)
	ds_swizzle_b32 v18, v18 offset:swizzle(SWAP,16)
	v_cndmask_b32_e64 v20, 2, 10, vcc
	v_or_b32_e32 v20, 0, v20
	v_cndmask_b32_e64 v26, 6, 14, vcc
	v_or_b32_e32 v26, 0, v26
	s_waitcnt lgkmcnt(0)
	scratch_store_short v21, v18, off
	scratch_load_ushort v18, v25, off
	s_waitcnt vmcnt(3)
	ds_swizzle_b32 v19, v19 offset:swizzle(SWAP,8)
	v_cndmask_b32_e64 v21, 12, 28, s[0:1]
	v_cndmask_b32_e64 v34, 48, 56, vcc
	v_cndmask_b32_e64 v36, 50, 58, vcc
	s_waitcnt lgkmcnt(0)
	scratch_store_short v22, v19, off
	scratch_load_ushort v22, v21, off
	s_waitcnt vmcnt(4)
	ds_swizzle_b32 v19, v24 offset:swizzle(SWAP,4)
	v_cndmask_b32_e64 v24, 14, 30, s[0:1]
	s_waitcnt lgkmcnt(0)
	scratch_store_short v23, v19, off
	scratch_load_ushort v19, v20, off
	v_cndmask_b32_e64 v23, 32, 48, s[0:1]
	s_waitcnt vmcnt(4)
	ds_swizzle_b32 v18, v18 offset:swizzle(SWAP,16)
	s_waitcnt lgkmcnt(0)
	scratch_store_short v25, v18, off
	scratch_load_ushort v18, v23, off
	s_waitcnt vmcnt(4)
	ds_swizzle_b32 v22, v22 offset:swizzle(SWAP,8)
	s_waitcnt lgkmcnt(0)
	scratch_store_short v21, v22, off
	scratch_load_ushort v21, v24, off
	s_waitcnt vmcnt(4)
	ds_swizzle_b32 v19, v19 offset:swizzle(SWAP,4)
	v_cndmask_b32_e64 v22, 4, 12, vcc
	v_or_b32_e32 v22, 0, v22
	s_waitcnt lgkmcnt(0)
	scratch_store_short v20, v19, off
	scratch_load_ushort v19, v22, off
	v_cndmask_b32_e64 v20, 34, 50, s[0:1]
	s_waitcnt vmcnt(4)
	ds_swizzle_b32 v18, v18 offset:swizzle(SWAP,8)
	s_waitcnt lgkmcnt(0)
	scratch_store_short v23, v18, off
	scratch_load_ushort v18, v20, off
	s_waitcnt vmcnt(4)
	ds_swizzle_b32 v21, v21 offset:swizzle(SWAP,8)
	v_and_b32_e32 v23, 2, v1
	v_lshlrev_b32_e32 v25, 1, v23
	v_xor_b32_e32 v25, 4, v25
	v_or_b32_e32 v25, 0, v25
	v_cmp_eq_u32_e64 s[2:3], 0, v23
	v_cndmask_b32_e64 v23, 16, 24, vcc
	s_waitcnt vmcnt(2)
	ds_swizzle_b32 v19, v19 offset:swizzle(SWAP,4)
	s_waitcnt lgkmcnt(1)
	scratch_store_short v24, v21, off
	s_waitcnt lgkmcnt(0)
	scratch_store_short v22, v19, off
	scratch_load_ushort v19, v26, off
	s_nop 0
	scratch_load_ushort v21, v25, off
	v_cndmask_b32_e64 v22, 36, 52, s[0:1]
	v_cndmask_b32_e64 v27, 8, 12, s[2:3]
	v_or_b32_e32 v27, 0, v27
	v_cndmask_b32_e64 v28, 10, 14, s[2:3]
	v_cndmask_b32_e64 v29, 16, 20, s[2:3]
	;; [unrolled: 1-line block ×4, first 2 shown]
	scratch_load_ushort v24, v23, off
	s_waitcnt vmcnt(5)
	ds_swizzle_b32 v18, v18 offset:swizzle(SWAP,8)
	s_waitcnt lgkmcnt(0)
	scratch_store_short v20, v18, off
	scratch_load_ushort v18, v22, off
	v_cndmask_b32_e64 v20, 2, 6, s[2:3]
	v_or_b32_e32 v20, 0, v20
	s_waitcnt vmcnt(4)
	ds_swizzle_b32 v19, v19 offset:swizzle(SWAP,4)
	s_waitcnt vmcnt(3)
	ds_swizzle_b32 v21, v21 offset:swizzle(SWAP,2)
	s_waitcnt lgkmcnt(1)
	scratch_store_short v26, v19, off
	s_waitcnt lgkmcnt(0)
	scratch_store_short v25, v21, off
	scratch_load_ushort v19, v20, off
	v_cndmask_b32_e64 v21, 38, 54, s[0:1]
	v_cndmask_b32_e64 v26, 18, 26, vcc
	s_waitcnt vmcnt(5)
	ds_swizzle_b32 v24, v24 offset:swizzle(SWAP,4)
	s_waitcnt lgkmcnt(0)
	scratch_store_short v23, v24, off
	scratch_load_ushort v23, v26, off
	s_waitcnt vmcnt(5)
	ds_swizzle_b32 v18, v18 offset:swizzle(SWAP,8)
	s_waitcnt lgkmcnt(0)
	scratch_store_short v22, v18, off
	scratch_load_ushort v18, v21, off
	v_and_b32_e32 v22, 1, v1
	v_lshlrev_b32_e32 v25, 1, v22
	v_xor_b32_e32 v25, 2, v25
	v_or_b32_e32 v24, 0, v25
	v_cndmask_b32_e64 v25, 40, 56, s[0:1]
	s_waitcnt vmcnt(4)
	ds_swizzle_b32 v19, v19 offset:swizzle(SWAP,2)
	v_cmp_eq_u32_e64 s[4:5], 0, v22
	s_waitcnt lgkmcnt(0)
	scratch_store_short v20, v19, off
	scratch_load_ushort v19, v27, off
	s_nop 0
	scratch_load_ushort v20, v24, off
	v_cndmask_b32_e64 v30, 8, 10, s[4:5]
	v_or_b32_e32 v30, 0, v30
	v_cndmask_b32_e64 v33, 12, 14, s[4:5]
	v_cndmask_b32_e64 v35, 20, 22, s[4:5]
	;; [unrolled: 1-line block ×9, first 2 shown]
	s_waitcnt vmcnt(5)
	ds_swizzle_b32 v22, v23 offset:swizzle(SWAP,4)
	v_cndmask_b32_e64 v23, 20, 28, vcc
	s_waitcnt lgkmcnt(0)
	scratch_store_short v26, v22, off
	v_or_b32_e32 v26, 0, v28
	v_cndmask_b32_e64 v28, 42, 58, s[0:1]
	scratch_load_ushort v22, v23, off
	s_waitcnt vmcnt(5)
	ds_swizzle_b32 v18, v18 offset:swizzle(SWAP,8)
	s_waitcnt lgkmcnt(0)
	scratch_store_short v21, v18, off
	scratch_load_ushort v18, v25, off
	v_cndmask_b32_e64 v21, 4, 6, s[4:5]
	v_or_b32_e32 v21, 0, v21
	s_waitcnt vmcnt(5)
	ds_swizzle_b32 v19, v19 offset:swizzle(SWAP,2)
	s_waitcnt lgkmcnt(0)
	scratch_store_short v27, v19, off
	scratch_load_ushort v19, v26, off
	s_nop 0
	scratch_load_ushort v27, v21, off
	s_waitcnt vmcnt(5)
	ds_swizzle_b32 v22, v22 offset:swizzle(SWAP,4)
	s_waitcnt lgkmcnt(0)
	scratch_store_short v23, v22, off
	s_waitcnt vmcnt(4)
	ds_swizzle_b32 v18, v18 offset:swizzle(SWAP,8)
	s_waitcnt lgkmcnt(0)
	scratch_store_short v25, v18, off
	scratch_load_ushort v18, v28, off
	v_cndmask_b32_e64 v25, 22, 30, vcc
	scratch_load_ushort v22, v25, off
	scratch_load_ushort v23, v29, off
	s_waitcnt vmcnt(6)
	ds_swizzle_b32 v19, v19 offset:swizzle(SWAP,2)
	s_waitcnt lgkmcnt(0)
	scratch_store_short v26, v19, off
	v_cndmask_b32_e64 v26, 44, 60, s[0:1]
	scratch_load_ushort v19, v30, off
	s_waitcnt vmcnt(4)
	ds_swizzle_b32 v18, v18 offset:swizzle(SWAP,8)
	s_waitcnt vmcnt(3)
	ds_swizzle_b32 v22, v22 offset:swizzle(SWAP,4)
	;; [unrolled: 2-line block ×3, first 2 shown]
	s_waitcnt lgkmcnt(2)
	scratch_store_short v28, v18, off
	scratch_load_ushort v18, v26, off
	v_cndmask_b32_e64 v28, 32, 40, vcc
	scratch_load_ushort v31, v28, off
	s_waitcnt lgkmcnt(1)
	scratch_store_short v25, v22, off
	s_waitcnt lgkmcnt(0)
	scratch_store_short v29, v23, off
	scratch_load_ushort v22, v32, off
	v_or_b32_e32 v23, 0, v33
	v_cndmask_b32_e64 v29, 46, 62, s[0:1]
	scratch_load_ushort v25, v23, off
	v_cndmask_b32_e64 v33, 16, 18, s[4:5]
	s_waitcnt vmcnt(7)
	ds_swizzle_b32 v19, v19 offset:swizzle(SWAP,1)
	s_waitcnt vmcnt(5)
	ds_swizzle_b32 v18, v18 offset:swizzle(SWAP,8)
	s_waitcnt lgkmcnt(0)
	scratch_store_short v26, v18, off
	scratch_load_ushort v18, v29, off
	s_waitcnt vmcnt(6)
	ds_swizzle_b32 v26, v31 offset:swizzle(SWAP,4)
	v_cndmask_b32_e64 v31, 34, 42, vcc
	s_waitcnt lgkmcnt(0)
	scratch_store_short v28, v26, off
	scratch_load_ushort v26, v31, off
	s_waitcnt vmcnt(5)
	ds_swizzle_b32 v22, v22 offset:swizzle(SWAP,2)
	v_cndmask_b32_e64 v28, 24, 28, s[2:3]
	s_waitcnt lgkmcnt(0)
	scratch_store_short v32, v22, off
	scratch_load_ushort v22, v28, off
	s_nop 0
	scratch_load_ushort v32, v33, off
	s_waitcnt vmcnt(5)
	ds_swizzle_b32 v18, v18 offset:swizzle(SWAP,8)
	s_waitcnt lgkmcnt(0)
	scratch_store_short v29, v18, off
	scratch_load_ushort v18, v34, off
	s_waitcnt vmcnt(5)
	ds_swizzle_b32 v26, v26 offset:swizzle(SWAP,4)
	v_cndmask_b32_e64 v29, 36, 44, vcc
	s_waitcnt lgkmcnt(0)
	scratch_store_short v31, v26, off
	scratch_load_ushort v26, v29, off
	s_waitcnt vmcnt(5)
	ds_swizzle_b32 v22, v22 offset:swizzle(SWAP,2)
	v_cndmask_b32_e64 v31, 26, 30, s[2:3]
	s_waitcnt lgkmcnt(0)
	scratch_store_short v28, v22, off
	scratch_load_ushort v22, v31, off
	s_nop 0
	scratch_load_ushort v28, v35, off
	s_waitcnt vmcnt(5)
	ds_swizzle_b32 v18, v18 offset:swizzle(SWAP,4)
	s_waitcnt lgkmcnt(0)
	scratch_store_short v34, v18, off
	scratch_load_ushort v18, v36, off
	s_waitcnt vmcnt(5)
	ds_swizzle_b32 v26, v26 offset:swizzle(SWAP,4)
	v_cndmask_b32_e64 v34, 38, 46, vcc
	s_waitcnt lgkmcnt(0)
	scratch_store_short v29, v26, off
	s_waitcnt vmcnt(4)
	ds_swizzle_b32 v22, v22 offset:swizzle(SWAP,2)
	v_cndmask_b32_e64 v29, 32, 36, s[2:3]
	scratch_load_ushort v38, v29, off
	s_waitcnt vmcnt(4)
	ds_swizzle_b32 v28, v28 offset:swizzle(SWAP,1)
	s_waitcnt lgkmcnt(1)
	scratch_store_short v31, v22, off
	scratch_load_ushort v22, v37, off
	s_nop 0
	scratch_load_ushort v26, v34, off
	v_cndmask_b32_e64 v31, 52, 60, vcc
	s_waitcnt vmcnt(5)
	ds_swizzle_b32 v18, v18 offset:swizzle(SWAP,4)
	s_waitcnt lgkmcnt(0)
	scratch_store_short v36, v18, off
	scratch_load_ushort v36, v31, off
	ds_swizzle_b32 v18, v20 offset:swizzle(SWAP,1)
	ds_swizzle_b32 v20, v25 offset:swizzle(SWAP,1)
	s_waitcnt vmcnt(5)
	ds_swizzle_b32 v25, v38 offset:swizzle(SWAP,2)
	v_cndmask_b32_e64 v38, 50, 54, s[2:3]
	s_waitcnt lgkmcnt(2)
	scratch_store_short v24, v18, off
	ds_swizzle_b32 v18, v27 offset:swizzle(SWAP,1)
	s_waitcnt vmcnt(3)
	ds_swizzle_b32 v24, v26 offset:swizzle(SWAP,4)
	s_waitcnt lgkmcnt(1)
	scratch_store_short v21, v18, off
	scratch_store_short v30, v19, off
	;; [unrolled: 1-line block ×3, first 2 shown]
	s_waitcnt lgkmcnt(0)
	scratch_store_short v34, v24, off
	scratch_store_short v29, v25, off
	scratch_load_ushort v23, v39, off
	s_nop 0
	scratch_load_ushort v24, v40, off
	scratch_load_dwordx4 v[18:21], off, off
	v_cndmask_b32_e64 v26, 54, 62, vcc
	v_cndmask_b32_e64 v27, 40, 44, s[2:3]
	v_cndmask_b32_e64 v29, 48, 52, s[2:3]
	;; [unrolled: 1-line block ×3, first 2 shown]
	ds_swizzle_b32 v22, v22 offset:swizzle(SWAP,1)
	s_waitcnt vmcnt(9)
	ds_swizzle_b32 v25, v36 offset:swizzle(SWAP,4)
	v_cndmask_b32_e64 v36, 56, 60, s[2:3]
	s_waitcnt lgkmcnt(0)
	scratch_store_short v31, v25, off
	scratch_load_ushort v25, v26, off
	s_nop 0
	scratch_load_ushort v30, v27, off
	scratch_load_ushort v31, v29, off
	s_waitcnt vmcnt(6)
	ds_swizzle_b32 v23, v23 offset:swizzle(SWAP,2)
	s_waitcnt vmcnt(5)
	ds_swizzle_b32 v24, v24 offset:swizzle(SWAP,1)
	s_waitcnt lgkmcnt(1)
	scratch_store_short v39, v23, off
	scratch_load_ushort v23, v34, off
	v_cndmask_b32_e64 v39, 58, 62, s[2:3]
	s_waitcnt vmcnt(4)
	ds_swizzle_b32 v25, v25 offset:swizzle(SWAP,4)
	s_waitcnt lgkmcnt(0)
	scratch_store_short v26, v25, off
	scratch_load_ushort v25, v36, off
	s_waitcnt vmcnt(5)
	ds_swizzle_b32 v26, v30 offset:swizzle(SWAP,2)
	s_waitcnt vmcnt(4)
	ds_swizzle_b32 v30, v31 offset:swizzle(SWAP,2)
	v_cndmask_b32_e64 v31, 42, 46, s[2:3]
	s_waitcnt lgkmcnt(1)
	scratch_store_short v27, v26, off
	s_waitcnt lgkmcnt(0)
	scratch_store_short v29, v30, off
	scratch_load_ushort v26, v31, off
	scratch_load_ushort v27, v38, off
	v_cndmask_b32_e64 v29, 36, 38, s[4:5]
	scratch_load_ushort v30, v29, off
	s_waitcnt vmcnt(7)
	ds_swizzle_b32 v23, v23 offset:swizzle(SWAP,1)
	s_waitcnt vmcnt(5)
	ds_swizzle_b32 v25, v25 offset:swizzle(SWAP,2)
	s_waitcnt lgkmcnt(0)
	scratch_store_short v36, v25, off
	scratch_load_ushort v25, v39, off
	s_waitcnt vmcnt(4)
	ds_swizzle_b32 v26, v26 offset:swizzle(SWAP,2)
	s_waitcnt vmcnt(3)
	ds_swizzle_b32 v27, v27 offset:swizzle(SWAP,2)
	v_cndmask_b32_e64 v36, 40, 42, s[4:5]
	s_waitcnt lgkmcnt(1)
	scratch_store_short v31, v26, off
	s_waitcnt lgkmcnt(0)
	scratch_store_short v38, v27, off
	scratch_load_ushort v26, v36, off
	s_nop 0
	scratch_load_ushort v27, v41, off
	scratch_load_ushort v31, v42, off
	;; [unrolled: 1-line block ×3, first 2 shown]
	s_waitcnt vmcnt(6)
	ds_swizzle_b32 v25, v25 offset:swizzle(SWAP,2)
	s_waitcnt lgkmcnt(0)
	scratch_store_short v39, v25, off
	scratch_load_ushort v39, v44, off
	s_nop 0
	scratch_load_ushort v46, v45, off
	ds_swizzle_b32 v25, v32 offset:swizzle(SWAP,1)
	scratch_store_short v35, v28, off
	s_waitcnt vmcnt(4)
	ds_swizzle_b32 v28, v38 offset:swizzle(SWAP,1)
	s_waitcnt lgkmcnt(1)
	scratch_store_short v33, v25, off
	ds_swizzle_b32 v25, v30 offset:swizzle(SWAP,1)
	scratch_store_short v37, v22, off
	scratch_store_short v40, v24, off
	;; [unrolled: 1-line block ×3, first 2 shown]
	ds_swizzle_b32 v22, v26 offset:swizzle(SWAP,1)
	ds_swizzle_b32 v26, v27 offset:swizzle(SWAP,1)
	;; [unrolled: 1-line block ×3, first 2 shown]
	s_waitcnt lgkmcnt(3)
	scratch_store_short v29, v25, off
	s_waitcnt lgkmcnt(2)
	scratch_store_short v36, v22, off
	scratch_load_dwordx4 v[22:25], off, off offset:16
	s_waitcnt vmcnt(9)
	ds_swizzle_b32 v29, v39 offset:swizzle(SWAP,1)
	s_waitcnt vmcnt(8)
	ds_swizzle_b32 v30, v46 offset:swizzle(SWAP,1)
	s_waitcnt lgkmcnt(3)
	scratch_store_short v41, v26, off
	s_waitcnt lgkmcnt(2)
	scratch_store_short v42, v27, off
	scratch_store_short v43, v28, off
	s_waitcnt lgkmcnt(1)
	scratch_store_short v44, v29, off
	s_waitcnt lgkmcnt(0)
	scratch_store_short v45, v30, off
	scratch_load_dwordx4 v[26:29], off, off offset:32
	s_nop 0
	scratch_load_dwordx4 v[30:33], off, off offset:48
	s_cbranch_execz .LBB10_3
	s_branch .LBB10_4
.LBB10_2:
                                        ; implicit-def: $vgpr32_vgpr33
                                        ; implicit-def: $vgpr28_vgpr29
                                        ; implicit-def: $vgpr24_vgpr25
                                        ; implicit-def: $vgpr20_vgpr21
.LBB10_3:
	s_waitcnt vmcnt(3)
	scratch_store_dwordx4 off, v[14:17], off
	s_waitcnt vmcnt(3)
	scratch_store_dwordx4 off, v[10:13], off offset:16
	s_waitcnt vmcnt(3)
	scratch_store_dwordx4 off, v[6:9], off offset:32
	;; [unrolled: 2-line block ×3, first 2 shown]
	v_and_b32_e32 v6, 16, v1
	v_lshlrev_b32_e32 v7, 1, v6
	v_xor_b32_e32 v7, 32, v7
	scratch_load_ushort v8, v7, off
	v_cmp_eq_u32_e32 vcc, 0, v6
	s_waitcnt vmcnt(0)
	ds_swizzle_b32 v8, v8 offset:swizzle(SWAP,16)
	v_cndmask_b32_e64 v6, 2, 34, vcc
	v_cndmask_b32_e64 v2, 16, 48, vcc
	v_cndmask_b32_e64 v4, 18, 50, vcc
	v_cndmask_b32_e64 v9, 30, 62, vcc
	s_waitcnt lgkmcnt(0)
	scratch_store_short v7, v8, off
	scratch_load_ushort v7, v6, off
	v_cndmask_b32_e64 v8, 4, 36, vcc
	s_waitcnt vmcnt(0)
	ds_swizzle_b32 v7, v7 offset:swizzle(SWAP,16)
	s_waitcnt lgkmcnt(0)
	scratch_store_short v6, v7, off
	scratch_load_ushort v6, v8, off
	v_cndmask_b32_e64 v7, 6, 38, vcc
	s_waitcnt vmcnt(0)
	ds_swizzle_b32 v6, v6 offset:swizzle(SWAP,16)
	;; [unrolled: 6-line block ×6, first 2 shown]
	s_waitcnt lgkmcnt(0)
	scratch_store_short v8, v6, off
	scratch_load_ushort v6, v7, off
	s_waitcnt vmcnt(0)
	ds_swizzle_b32 v6, v6 offset:swizzle(SWAP,16)
	s_waitcnt lgkmcnt(0)
	scratch_store_short v7, v6, off
	scratch_load_ushort v3, v2, off
	v_cndmask_b32_e64 v7, 20, 52, vcc
	s_waitcnt vmcnt(0)
	ds_swizzle_b32 v3, v3 offset:swizzle(SWAP,16)
	s_waitcnt lgkmcnt(0)
	scratch_store_short v2, v3, off
	scratch_load_ushort v2, v4, off
	v_and_b32_e32 v3, 8, v1
	v_lshlrev_b32_e32 v5, 1, v3
	v_xor_b32_e32 v5, 16, v5
	scratch_load_ushort v6, v5, off
	v_cmp_eq_u32_e64 s[0:1], 0, v3
	s_waitcnt vmcnt(1)
	ds_swizzle_b32 v2, v2 offset:swizzle(SWAP,16)
	v_cndmask_b32_e64 v3, 2, 18, s[0:1]
	s_waitcnt lgkmcnt(0)
	scratch_store_short v4, v2, off
	scratch_load_ushort v2, v7, off
	s_waitcnt vmcnt(2)
	ds_swizzle_b32 v4, v6 offset:swizzle(SWAP,8)
	v_cndmask_b32_e64 v6, 4, 20, s[0:1]
	s_waitcnt lgkmcnt(0)
	scratch_store_short v5, v4, off
	scratch_load_ushort v4, v3, off
	v_cndmask_b32_e64 v5, 22, 54, vcc
	s_waitcnt vmcnt(2)
	ds_swizzle_b32 v2, v2 offset:swizzle(SWAP,16)
	s_waitcnt lgkmcnt(0)
	scratch_store_short v7, v2, off
	scratch_load_ushort v2, v5, off
	s_waitcnt vmcnt(2)
	ds_swizzle_b32 v4, v4 offset:swizzle(SWAP,8)
	s_waitcnt lgkmcnt(0)
	scratch_store_short v3, v4, off
	scratch_load_ushort v3, v6, off
	v_cndmask_b32_e64 v4, 24, 56, vcc
	s_waitcnt vmcnt(2)
	ds_swizzle_b32 v2, v2 offset:swizzle(SWAP,16)
	s_waitcnt lgkmcnt(0)
	scratch_store_short v5, v2, off
	scratch_load_ushort v2, v4, off
	s_waitcnt vmcnt(2)
	ds_swizzle_b32 v3, v3 offset:swizzle(SWAP,8)
	v_cndmask_b32_e64 v5, 6, 22, s[0:1]
	s_waitcnt lgkmcnt(0)
	scratch_store_short v6, v3, off
	scratch_load_ushort v3, v5, off
	v_cndmask_b32_e64 v6, 26, 58, vcc
	s_waitcnt vmcnt(2)
	ds_swizzle_b32 v2, v2 offset:swizzle(SWAP,16)
	s_waitcnt lgkmcnt(0)
	scratch_store_short v4, v2, off
	scratch_load_ushort v2, v6, off
	s_waitcnt vmcnt(2)
	ds_swizzle_b32 v3, v3 offset:swizzle(SWAP,8)
	v_cndmask_b32_e64 v4, 8, 24, s[0:1]
	;; [unrolled: 12-line block ×3, first 2 shown]
	s_waitcnt lgkmcnt(0)
	scratch_store_short v4, v3, off
	scratch_load_ushort v3, v6, off
	v_and_b32_e32 v4, 4, v1
	v_lshlrev_b32_e32 v7, 1, v4
	v_xor_b32_e32 v7, 8, v7
	v_or_b32_e32 v7, 0, v7
	scratch_load_ushort v8, v7, off
	v_cmp_eq_u32_e32 vcc, 0, v4
	s_waitcnt vmcnt(3)
	ds_swizzle_b32 v2, v2 offset:swizzle(SWAP,16)
	v_cndmask_b32_e64 v4, 2, 10, vcc
	v_or_b32_e32 v4, 0, v4
	v_cndmask_b32_e64 v10, 6, 14, vcc
	v_or_b32_e32 v10, 0, v10
	s_waitcnt lgkmcnt(0)
	scratch_store_short v5, v2, off
	scratch_load_ushort v2, v9, off
	s_waitcnt vmcnt(3)
	ds_swizzle_b32 v3, v3 offset:swizzle(SWAP,8)
	v_cndmask_b32_e64 v5, 12, 28, s[0:1]
	v_cndmask_b32_e64 v17, 48, 56, vcc
	v_cndmask_b32_e64 v18, 50, 58, vcc
	s_waitcnt lgkmcnt(0)
	scratch_store_short v6, v3, off
	scratch_load_ushort v6, v5, off
	s_waitcnt vmcnt(4)
	ds_swizzle_b32 v3, v8 offset:swizzle(SWAP,4)
	v_cndmask_b32_e64 v8, 14, 30, s[0:1]
	s_waitcnt lgkmcnt(0)
	scratch_store_short v7, v3, off
	scratch_load_ushort v3, v4, off
	v_cndmask_b32_e64 v7, 32, 48, s[0:1]
	s_waitcnt vmcnt(4)
	ds_swizzle_b32 v2, v2 offset:swizzle(SWAP,16)
	s_waitcnt lgkmcnt(0)
	scratch_store_short v9, v2, off
	scratch_load_ushort v2, v7, off
	s_waitcnt vmcnt(4)
	ds_swizzle_b32 v6, v6 offset:swizzle(SWAP,8)
	s_waitcnt lgkmcnt(0)
	scratch_store_short v5, v6, off
	scratch_load_ushort v5, v8, off
	s_waitcnt vmcnt(4)
	ds_swizzle_b32 v3, v3 offset:swizzle(SWAP,4)
	v_cndmask_b32_e64 v6, 4, 12, vcc
	v_or_b32_e32 v6, 0, v6
	s_waitcnt lgkmcnt(0)
	scratch_store_short v4, v3, off
	scratch_load_ushort v3, v6, off
	v_cndmask_b32_e64 v4, 34, 50, s[0:1]
	s_waitcnt vmcnt(4)
	ds_swizzle_b32 v2, v2 offset:swizzle(SWAP,8)
	s_waitcnt lgkmcnt(0)
	scratch_store_short v7, v2, off
	scratch_load_ushort v2, v4, off
	s_waitcnt vmcnt(4)
	ds_swizzle_b32 v5, v5 offset:swizzle(SWAP,8)
	v_and_b32_e32 v7, 2, v1
	v_lshlrev_b32_e32 v9, 1, v7
	v_xor_b32_e32 v9, 4, v9
	v_or_b32_e32 v9, 0, v9
	v_cmp_eq_u32_e64 s[2:3], 0, v7
	v_cndmask_b32_e64 v7, 16, 24, vcc
	s_waitcnt vmcnt(2)
	ds_swizzle_b32 v3, v3 offset:swizzle(SWAP,4)
	s_waitcnt lgkmcnt(1)
	scratch_store_short v8, v5, off
	s_waitcnt lgkmcnt(0)
	scratch_store_short v6, v3, off
	scratch_load_ushort v3, v10, off
	s_nop 0
	scratch_load_ushort v5, v9, off
	v_cndmask_b32_e64 v6, 36, 52, s[0:1]
	v_and_b32_e32 v1, 1, v1
	v_cmp_eq_u32_e64 s[4:5], 0, v1
	v_cndmask_b32_e64 v11, 10, 14, s[2:3]
	v_cndmask_b32_e64 v12, 16, 20, s[2:3]
	;; [unrolled: 1-line block ×3, first 2 shown]
	v_or_b32_e32 v13, 0, v13
	v_cndmask_b32_e64 v15, 18, 22, s[2:3]
	v_cndmask_b32_e64 v16, 12, 14, s[4:5]
	;; [unrolled: 1-line block ×10, first 2 shown]
	scratch_load_ushort v8, v7, off
	s_waitcnt vmcnt(5)
	ds_swizzle_b32 v2, v2 offset:swizzle(SWAP,8)
	s_waitcnt lgkmcnt(0)
	scratch_store_short v4, v2, off
	scratch_load_ushort v2, v6, off
	v_cndmask_b32_e64 v4, 2, 6, s[2:3]
	v_or_b32_e32 v4, 0, v4
	s_waitcnt vmcnt(4)
	ds_swizzle_b32 v3, v3 offset:swizzle(SWAP,4)
	s_waitcnt vmcnt(3)
	ds_swizzle_b32 v5, v5 offset:swizzle(SWAP,2)
	s_waitcnt lgkmcnt(1)
	scratch_store_short v10, v3, off
	s_waitcnt lgkmcnt(0)
	scratch_store_short v9, v5, off
	scratch_load_ushort v3, v4, off
	v_cndmask_b32_e64 v5, 38, 54, s[0:1]
	v_cndmask_b32_e64 v9, 18, 26, vcc
	v_cndmask_b32_e64 v10, 8, 12, s[2:3]
	v_or_b32_e32 v10, 0, v10
	s_waitcnt vmcnt(5)
	ds_swizzle_b32 v8, v8 offset:swizzle(SWAP,4)
	s_waitcnt lgkmcnt(0)
	scratch_store_short v7, v8, off
	v_cndmask_b32_e64 v8, 40, 56, s[0:1]
	scratch_load_ushort v7, v9, off
	s_waitcnt vmcnt(5)
	ds_swizzle_b32 v2, v2 offset:swizzle(SWAP,8)
	s_waitcnt lgkmcnt(0)
	scratch_store_short v6, v2, off
	scratch_load_ushort v2, v5, off
	v_lshlrev_b32_e32 v6, 1, v1
	v_xor_b32_e32 v6, 2, v6
	v_or_b32_e32 v6, 0, v6
	v_cndmask_b32_e64 v1, 4, 6, s[4:5]
	v_or_b32_e32 v1, 0, v1
	s_waitcnt vmcnt(4)
	ds_swizzle_b32 v3, v3 offset:swizzle(SWAP,2)
	s_waitcnt lgkmcnt(0)
	scratch_store_short v4, v3, off
	scratch_load_ushort v3, v10, off
	s_nop 0
	scratch_load_ushort v4, v6, off
	s_waitcnt vmcnt(3)
	ds_swizzle_b32 v2, v2 offset:swizzle(SWAP,8)
	s_waitcnt lgkmcnt(0)
	scratch_store_short v5, v2, off
	scratch_load_ushort v2, v8, off
	ds_swizzle_b32 v5, v7 offset:swizzle(SWAP,4)
	v_cndmask_b32_e64 v7, 20, 28, vcc
	s_waitcnt vmcnt(3)
	ds_swizzle_b32 v3, v3 offset:swizzle(SWAP,2)
	s_waitcnt lgkmcnt(1)
	scratch_store_short v9, v5, off
	scratch_load_ushort v5, v7, off
	v_or_b32_e32 v9, 0, v11
	v_cndmask_b32_e64 v11, 42, 58, s[0:1]
	s_waitcnt lgkmcnt(0)
	scratch_store_short v10, v3, off
	scratch_load_ushort v3, v9, off
	s_nop 0
	scratch_load_ushort v10, v1, off
	s_waitcnt vmcnt(7)
	ds_swizzle_b32 v4, v4 offset:swizzle(SWAP,1)
	s_waitcnt vmcnt(5)
	ds_swizzle_b32 v2, v2 offset:swizzle(SWAP,8)
	s_waitcnt lgkmcnt(0)
	scratch_store_short v8, v2, off
	scratch_load_ushort v2, v11, off
	s_waitcnt vmcnt(5)
	ds_swizzle_b32 v5, v5 offset:swizzle(SWAP,4)
	v_cndmask_b32_e64 v8, 22, 30, vcc
	s_waitcnt vmcnt(3)
	ds_swizzle_b32 v3, v3 offset:swizzle(SWAP,2)
	s_waitcnt lgkmcnt(1)
	scratch_store_short v7, v5, off
	scratch_load_ushort v5, v8, off
	s_nop 0
	scratch_load_ushort v7, v12, off
	s_waitcnt vmcnt(3)
	ds_swizzle_b32 v2, v2 offset:swizzle(SWAP,8)
	s_waitcnt lgkmcnt(1)
	scratch_store_short v9, v3, off
	v_cndmask_b32_e64 v9, 44, 60, s[0:1]
	scratch_load_ushort v3, v13, off
	s_waitcnt vmcnt(3)
	ds_swizzle_b32 v5, v5 offset:swizzle(SWAP,4)
	s_waitcnt lgkmcnt(1)
	scratch_store_short v11, v2, off
	scratch_load_ushort v2, v9, off
	v_cndmask_b32_e64 v11, 32, 40, vcc
	scratch_load_ushort v14, v11, off
	s_waitcnt vmcnt(5)
	ds_swizzle_b32 v7, v7 offset:swizzle(SWAP,2)
	s_waitcnt lgkmcnt(1)
	scratch_store_short v8, v5, off
	s_waitcnt lgkmcnt(0)
	scratch_store_short v12, v7, off
	scratch_load_ushort v5, v15, off
	v_or_b32_e32 v7, 0, v16
	v_cndmask_b32_e64 v12, 46, 62, s[0:1]
	scratch_load_ushort v8, v7, off
	v_cndmask_b32_e64 v16, 16, 18, s[4:5]
	s_waitcnt vmcnt(7)
	ds_swizzle_b32 v3, v3 offset:swizzle(SWAP,1)
	s_waitcnt vmcnt(5)
	ds_swizzle_b32 v2, v2 offset:swizzle(SWAP,8)
	s_waitcnt lgkmcnt(0)
	scratch_store_short v9, v2, off
	scratch_load_ushort v2, v12, off
	s_waitcnt vmcnt(6)
	ds_swizzle_b32 v9, v14 offset:swizzle(SWAP,4)
	v_cndmask_b32_e64 v14, 34, 42, vcc
	s_waitcnt lgkmcnt(0)
	scratch_store_short v11, v9, off
	scratch_load_ushort v9, v14, off
	s_waitcnt vmcnt(5)
	ds_swizzle_b32 v5, v5 offset:swizzle(SWAP,2)
	v_cndmask_b32_e64 v11, 24, 28, s[2:3]
	s_waitcnt lgkmcnt(0)
	scratch_store_short v15, v5, off
	scratch_load_ushort v5, v11, off
	s_nop 0
	scratch_load_ushort v15, v16, off
	s_waitcnt vmcnt(5)
	ds_swizzle_b32 v2, v2 offset:swizzle(SWAP,8)
	s_waitcnt lgkmcnt(0)
	scratch_store_short v12, v2, off
	scratch_load_ushort v2, v17, off
	s_waitcnt vmcnt(5)
	ds_swizzle_b32 v9, v9 offset:swizzle(SWAP,4)
	v_cndmask_b32_e64 v12, 36, 44, vcc
	s_waitcnt lgkmcnt(0)
	scratch_store_short v14, v9, off
	scratch_load_ushort v9, v12, off
	s_waitcnt vmcnt(5)
	ds_swizzle_b32 v5, v5 offset:swizzle(SWAP,2)
	v_cndmask_b32_e64 v14, 26, 30, s[2:3]
	s_waitcnt vmcnt(4)
	ds_swizzle_b32 v15, v15 offset:swizzle(SWAP,1)
	s_waitcnt lgkmcnt(1)
	scratch_store_short v11, v5, off
	scratch_load_ushort v5, v14, off
	s_nop 0
	scratch_load_ushort v11, v22, off
	s_waitcnt vmcnt(5)
	ds_swizzle_b32 v2, v2 offset:swizzle(SWAP,4)
	scratch_store_short v6, v4, off
	ds_swizzle_b32 v4, v10 offset:swizzle(SWAP,1)
	ds_swizzle_b32 v6, v8 offset:swizzle(SWAP,1)
	v_cndmask_b32_e64 v10, 32, 34, s[4:5]
	s_waitcnt lgkmcnt(2)
	scratch_store_short v17, v2, off
	scratch_load_ushort v2, v18, off
	s_waitcnt vmcnt(6)
	ds_swizzle_b32 v9, v9 offset:swizzle(SWAP,4)
	v_cndmask_b32_e64 v17, 38, 46, vcc
	s_waitcnt lgkmcnt(0)
	scratch_store_short v12, v9, off
	s_waitcnt vmcnt(5)
	ds_swizzle_b32 v5, v5 offset:swizzle(SWAP,2)
	v_cndmask_b32_e64 v12, 32, 36, s[2:3]
	scratch_load_ushort v19, v12, off
	s_waitcnt vmcnt(5)
	ds_swizzle_b32 v11, v11 offset:swizzle(SWAP,1)
	s_waitcnt lgkmcnt(1)
	scratch_store_short v14, v5, off
	scratch_load_ushort v5, v23, off
	s_nop 0
	scratch_load_ushort v9, v17, off
	v_cndmask_b32_e64 v14, 52, 60, vcc
	s_waitcnt vmcnt(5)
	ds_swizzle_b32 v2, v2 offset:swizzle(SWAP,4)
	s_waitcnt lgkmcnt(0)
	scratch_store_short v18, v2, off
	scratch_load_ushort v2, v14, off
	s_waitcnt vmcnt(3)
	ds_swizzle_b32 v5, v5 offset:swizzle(SWAP,1)
	s_waitcnt vmcnt(2)
	ds_swizzle_b32 v8, v9 offset:swizzle(SWAP,4)
	ds_swizzle_b32 v9, v19 offset:swizzle(SWAP,2)
	scratch_store_short v1, v4, off
	scratch_store_short v13, v3, off
	;; [unrolled: 1-line block ×3, first 2 shown]
	s_waitcnt lgkmcnt(1)
	scratch_store_short v17, v8, off
	s_waitcnt lgkmcnt(0)
	scratch_store_short v12, v9, off
	scratch_load_ushort v1, v24, off
	scratch_load_ushort v3, v25, off
	scratch_load_dwordx4 v[18:21], off, off
	v_cndmask_b32_e64 v4, 54, 62, vcc
	v_cndmask_b32_e64 v6, 40, 44, s[2:3]
	v_cndmask_b32_e64 v7, 48, 52, s[2:3]
	;; [unrolled: 1-line block ×5, first 2 shown]
	s_waitcnt vmcnt(8)
	ds_swizzle_b32 v2, v2 offset:swizzle(SWAP,4)
	s_waitcnt lgkmcnt(0)
	scratch_store_short v14, v2, off
	scratch_load_ushort v2, v4, off
	s_nop 0
	scratch_load_ushort v8, v6, off
	scratch_load_ushort v9, v7, off
	v_cndmask_b32_e64 v14, 58, 62, s[2:3]
	s_waitcnt vmcnt(6)
	ds_swizzle_b32 v1, v1 offset:swizzle(SWAP,2)
	s_waitcnt vmcnt(5)
	ds_swizzle_b32 v3, v3 offset:swizzle(SWAP,1)
	s_waitcnt lgkmcnt(1)
	scratch_store_short v24, v1, off
	scratch_load_ushort v1, v10, off
	s_waitcnt vmcnt(4)
	ds_swizzle_b32 v2, v2 offset:swizzle(SWAP,4)
	s_waitcnt lgkmcnt(0)
	scratch_store_short v4, v2, off
	scratch_load_ushort v2, v12, off
	s_waitcnt vmcnt(5)
	ds_swizzle_b32 v4, v8 offset:swizzle(SWAP,2)
	s_waitcnt vmcnt(4)
	ds_swizzle_b32 v8, v9 offset:swizzle(SWAP,2)
	v_cndmask_b32_e64 v9, 42, 46, s[2:3]
	s_waitcnt lgkmcnt(1)
	scratch_store_short v6, v4, off
	s_waitcnt lgkmcnt(0)
	scratch_store_short v7, v8, off
	scratch_load_ushort v4, v9, off
	scratch_load_ushort v6, v13, off
	v_cndmask_b32_e64 v7, 36, 38, s[4:5]
	scratch_load_ushort v8, v7, off
	s_waitcnt vmcnt(7)
	ds_swizzle_b32 v1, v1 offset:swizzle(SWAP,1)
	s_waitcnt vmcnt(5)
	ds_swizzle_b32 v2, v2 offset:swizzle(SWAP,2)
	s_waitcnt lgkmcnt(0)
	scratch_store_short v12, v2, off
	scratch_load_ushort v2, v14, off
	s_waitcnt vmcnt(4)
	ds_swizzle_b32 v4, v4 offset:swizzle(SWAP,2)
	s_waitcnt vmcnt(3)
	ds_swizzle_b32 v6, v6 offset:swizzle(SWAP,2)
	v_cndmask_b32_e64 v12, 40, 42, s[4:5]
	s_waitcnt lgkmcnt(1)
	scratch_store_short v9, v4, off
	s_waitcnt lgkmcnt(0)
	scratch_store_short v13, v6, off
	scratch_load_ushort v4, v12, off
	s_nop 0
	scratch_load_ushort v6, v17, off
	scratch_load_ushort v9, v26, off
	;; [unrolled: 1-line block ×3, first 2 shown]
	s_waitcnt vmcnt(8)
	ds_swizzle_b32 v8, v8 offset:swizzle(SWAP,1)
	s_waitcnt vmcnt(6)
	ds_swizzle_b32 v2, v2 offset:swizzle(SWAP,2)
	s_waitcnt lgkmcnt(0)
	scratch_store_short v14, v2, off
	scratch_load_ushort v2, v28, off
	s_nop 0
	scratch_load_ushort v14, v29, off
	s_nop 0
	scratch_store_short v16, v15, off
	scratch_store_short v22, v11, off
	;; [unrolled: 1-line block ×5, first 2 shown]
	s_waitcnt vmcnt(11)
	ds_swizzle_b32 v1, v4 offset:swizzle(SWAP,1)
	s_waitcnt vmcnt(10)
	ds_swizzle_b32 v3, v6 offset:swizzle(SWAP,1)
	;; [unrolled: 2-line block ×4, first 2 shown]
	scratch_store_short v7, v8, off
	s_waitcnt lgkmcnt(3)
	scratch_store_short v12, v1, off
	scratch_load_dwordx4 v[22:25], off, off offset:16
	s_waitcnt vmcnt(9)
	ds_swizzle_b32 v1, v2 offset:swizzle(SWAP,1)
	s_waitcnt vmcnt(8)
	ds_swizzle_b32 v2, v14 offset:swizzle(SWAP,1)
	s_waitcnt lgkmcnt(4)
	scratch_store_short v17, v3, off
	s_waitcnt lgkmcnt(3)
	scratch_store_short v26, v4, off
	;; [unrolled: 2-line block ×5, first 2 shown]
	scratch_load_dwordx4 v[26:29], off, off offset:32
	s_nop 0
	scratch_load_dwordx4 v[30:33], off, off offset:48
.LBB10_4:
	v_lshlrev_b32_e32 v0, 1, v0
	global_store_dwordx4 v0, v[18:21], s[6:7]
	s_waitcnt vmcnt(8)
	global_store_dwordx4 v0, v[22:25], s[6:7] offset:16
	s_waitcnt vmcnt(3)
	global_store_dwordx4 v0, v[26:29], s[6:7] offset:32
	;; [unrolled: 2-line block ×3, first 2 shown]
	s_endpgm
	.section	.rodata,"a",@progbits
	.p2align	6, 0x0
	.amdhsa_kernel _Z20warp_exchange_kernelILj32ELj32EN6common25StripedToBlockedShuffleOpEsEvPT2_S3_b
		.amdhsa_group_segment_fixed_size 0
		.amdhsa_private_segment_fixed_size 80
		.amdhsa_kernarg_size 20
		.amdhsa_user_sgpr_count 2
		.amdhsa_user_sgpr_dispatch_ptr 0
		.amdhsa_user_sgpr_queue_ptr 0
		.amdhsa_user_sgpr_kernarg_segment_ptr 1
		.amdhsa_user_sgpr_dispatch_id 0
		.amdhsa_user_sgpr_kernarg_preload_length 0
		.amdhsa_user_sgpr_kernarg_preload_offset 0
		.amdhsa_user_sgpr_private_segment_size 0
		.amdhsa_uses_dynamic_stack 0
		.amdhsa_enable_private_segment 1
		.amdhsa_system_sgpr_workgroup_id_x 1
		.amdhsa_system_sgpr_workgroup_id_y 0
		.amdhsa_system_sgpr_workgroup_id_z 0
		.amdhsa_system_sgpr_workgroup_info 0
		.amdhsa_system_vgpr_workitem_id 0
		.amdhsa_next_free_vgpr 47
		.amdhsa_next_free_sgpr 8
		.amdhsa_accum_offset 48
		.amdhsa_reserve_vcc 1
		.amdhsa_float_round_mode_32 0
		.amdhsa_float_round_mode_16_64 0
		.amdhsa_float_denorm_mode_32 3
		.amdhsa_float_denorm_mode_16_64 3
		.amdhsa_dx10_clamp 1
		.amdhsa_ieee_mode 1
		.amdhsa_fp16_overflow 0
		.amdhsa_tg_split 0
		.amdhsa_exception_fp_ieee_invalid_op 0
		.amdhsa_exception_fp_denorm_src 0
		.amdhsa_exception_fp_ieee_div_zero 0
		.amdhsa_exception_fp_ieee_overflow 0
		.amdhsa_exception_fp_ieee_underflow 0
		.amdhsa_exception_fp_ieee_inexact 0
		.amdhsa_exception_int_div_zero 0
	.end_amdhsa_kernel
	.section	.text._Z20warp_exchange_kernelILj32ELj32EN6common25StripedToBlockedShuffleOpEsEvPT2_S3_b,"axG",@progbits,_Z20warp_exchange_kernelILj32ELj32EN6common25StripedToBlockedShuffleOpEsEvPT2_S3_b,comdat
.Lfunc_end10:
	.size	_Z20warp_exchange_kernelILj32ELj32EN6common25StripedToBlockedShuffleOpEsEvPT2_S3_b, .Lfunc_end10-_Z20warp_exchange_kernelILj32ELj32EN6common25StripedToBlockedShuffleOpEsEvPT2_S3_b
                                        ; -- End function
	.section	.AMDGPU.csdata,"",@progbits
; Kernel info:
; codeLenInByte = 6872
; NumSgprs: 14
; NumVgprs: 47
; NumAgprs: 0
; TotalNumVgprs: 47
; ScratchSize: 80
; MemoryBound: 0
; FloatMode: 240
; IeeeMode: 1
; LDSByteSize: 0 bytes/workgroup (compile time only)
; SGPRBlocks: 1
; VGPRBlocks: 5
; NumSGPRsForWavesPerEU: 14
; NumVGPRsForWavesPerEU: 47
; AccumOffset: 48
; Occupancy: 8
; WaveLimiterHint : 0
; COMPUTE_PGM_RSRC2:SCRATCH_EN: 1
; COMPUTE_PGM_RSRC2:USER_SGPR: 2
; COMPUTE_PGM_RSRC2:TRAP_HANDLER: 0
; COMPUTE_PGM_RSRC2:TGID_X_EN: 1
; COMPUTE_PGM_RSRC2:TGID_Y_EN: 0
; COMPUTE_PGM_RSRC2:TGID_Z_EN: 0
; COMPUTE_PGM_RSRC2:TIDIG_COMP_CNT: 0
; COMPUTE_PGM_RSRC3_GFX90A:ACCUM_OFFSET: 11
; COMPUTE_PGM_RSRC3_GFX90A:TG_SPLIT: 0
	.section	.text._Z20warp_exchange_kernelILj16ELj16EN6common25StripedToBlockedShuffleOpEaEvPT2_S3_b,"axG",@progbits,_Z20warp_exchange_kernelILj16ELj16EN6common25StripedToBlockedShuffleOpEaEvPT2_S3_b,comdat
	.protected	_Z20warp_exchange_kernelILj16ELj16EN6common25StripedToBlockedShuffleOpEaEvPT2_S3_b ; -- Begin function _Z20warp_exchange_kernelILj16ELj16EN6common25StripedToBlockedShuffleOpEaEvPT2_S3_b
	.globl	_Z20warp_exchange_kernelILj16ELj16EN6common25StripedToBlockedShuffleOpEaEvPT2_S3_b
	.p2align	8
	.type	_Z20warp_exchange_kernelILj16ELj16EN6common25StripedToBlockedShuffleOpEaEvPT2_S3_b,@function
_Z20warp_exchange_kernelILj16ELj16EN6common25StripedToBlockedShuffleOpEaEvPT2_S3_b: ; @_Z20warp_exchange_kernelILj16ELj16EN6common25StripedToBlockedShuffleOpEaEvPT2_S3_b
; %bb.0:
	s_load_dwordx4 s[4:7], s[0:1], 0x0
	s_load_dword s8, s[0:1], 0x10
                                        ; implicit-def: $vgpr43 : SGPR spill to VGPR lane
	v_mbcnt_lo_u32_b32 v4, -1, 0
	v_mbcnt_hi_u32_b32 v10, -1, v4
	v_and_b32_e32 v4, 8, v10
	s_waitcnt lgkmcnt(0)
	s_mov_b64 s[2:3], s[6:7]
	v_writelane_b32 v43, s0, 0
	v_xor_b32_e32 v7, 8, v4
	v_cmp_eq_u32_e32 vcc, 0, v4
	v_writelane_b32 v43, s1, 1
	v_writelane_b32 v43, s2, 2
	;; [unrolled: 1-line block ×3, first 2 shown]
	v_cmp_eq_u32_e64 s[0:1], 0, v7
	v_cndmask_b32_e64 v15, 1, 9, vcc
	v_lshlrev_b32_e32 v8, 4, v0
	v_writelane_b32 v43, s0, 4
	global_load_dwordx4 v[0:3], v8, s[4:5]
	v_cndmask_b32_e64 v6, 2, 10, vcc
	v_writelane_b32 v43, s1, 5
	v_cmp_eq_u32_e64 s[0:1], 1, v15
	v_cndmask_b32_e64 v5, 3, 11, vcc
	v_cndmask_b32_e64 v4, 4, 12, vcc
	v_writelane_b32 v43, s0, 6
                                        ; implicit-def: $vgpr42 : SGPR spill to VGPR lane
	v_cmp_eq_u32_e64 s[16:17], 15, v15
	v_cmp_eq_u32_e64 s[20:21], 4, v4
	v_writelane_b32 v43, s1, 7
	v_cmp_eq_u32_e64 s[0:1], 2, v15
	v_cmp_eq_u32_e64 s[24:25], 10, v6
	v_cmp_eq_u32_e64 s[26:27], 5, v4
	v_writelane_b32 v43, s0, 8
	v_cmp_eq_u32_e64 s[28:29], 11, v6
	v_cmp_eq_u32_e64 s[30:31], 6, v4
	v_writelane_b32 v43, s1, 9
	v_cmp_eq_u32_e64 s[0:1], 3, v15
	v_cmp_eq_u32_e64 s[34:35], 12, v6
	v_cmp_eq_u32_e64 s[36:37], 7, v4
	v_writelane_b32 v43, s0, 10
	;; [unrolled: 7-line block ×3, first 2 shown]
	v_cmp_eq_u32_e64 s[74:75], 0, v6
	v_cmp_eq_u32_e64 s[48:49], 2, v5
	v_writelane_b32 v43, s1, 13
	v_cmp_eq_u32_e64 s[0:1], 5, v15
                                        ; implicit-def: $vgpr41 : SGPR spill to VGPR lane
	v_cmp_eq_u32_e64 s[70:71], 13, v6
	v_writelane_b32 v41, s74, 0
	v_writelane_b32 v43, s0, 14
	v_cmp_eq_u32_e64 s[50:51], 11, v4
	v_writelane_b32 v41, s75, 1
	v_writelane_b32 v43, s1, 15
	v_cmp_eq_u32_e64 s[0:1], 6, v15
	v_writelane_b32 v41, s70, 2
	v_cmp_eq_u32_e64 s[68:69], 14, v6
	;; [unrolled: 2-line block ×3, first 2 shown]
	v_writelane_b32 v41, s71, 3
	v_writelane_b32 v43, s1, 17
	v_cmp_eq_u32_e64 s[0:1], 7, v15
	v_writelane_b32 v41, s68, 4
	v_cmp_eq_u32_e64 s[62:63], 15, v6
	;; [unrolled: 2-line block ×3, first 2 shown]
	v_writelane_b32 v41, s69, 5
	v_writelane_b32 v43, s1, 19
	v_cmp_eq_u32_e64 s[0:1], 8, v15
	v_writelane_b32 v41, s62, 6
	v_cndmask_b32_e64 v14, 5, 13, vcc
	v_writelane_b32 v43, s0, 20
	v_cndmask_b32_e64 v13, 6, 14, vcc
	v_cndmask_b32_e64 v12, 7, 15, vcc
	v_writelane_b32 v43, s1, 21
	v_cmp_eq_u32_e64 s[0:1], 9, v15
	v_cmp_eq_u32_e32 vcc, 1, v7
	v_cmp_eq_u32_e64 s[56:57], 4, v5
	v_writelane_b32 v43, s0, 22
	v_writelane_b32 v41, s63, 7
	v_cmp_eq_u32_e64 s[92:93], 2, v7
	v_writelane_b32 v43, s1, 23
	v_cmp_eq_u32_e64 s[0:1], 10, v15
	v_cmp_eq_u32_e64 s[58:59], 13, v4
	;; [unrolled: 1-line block ×3, first 2 shown]
	v_writelane_b32 v43, s0, 24
	v_cmp_eq_u32_e64 s[94:95], 4, v7
	v_cmp_eq_u32_e64 s[60:61], 5, v5
	v_writelane_b32 v43, s1, 25
	v_cmp_eq_u32_e64 s[0:1], 11, v15
	v_cmp_eq_u32_e64 s[66:67], 14, v4
	;; [unrolled: 1-line block ×3, first 2 shown]
	v_writelane_b32 v43, s0, 26
	v_cmp_eq_u32_e64 s[78:79], 6, v7
	v_cmp_eq_u32_e64 s[64:65], 6, v5
	v_writelane_b32 v43, s1, 27
	v_cmp_eq_u32_e64 s[0:1], 12, v15
	s_waitcnt vmcnt(0)
	v_lshrrev_b32_e32 v16, 16, v0
	v_lshrrev_b32_e32 v25, 24, v0
	v_writelane_b32 v43, s0, 28
	v_lshrrev_b32_e32 v17, 8, v1
	v_lshrrev_b32_e32 v18, 16, v1
	v_writelane_b32 v43, s1, 29
	v_cmp_eq_u32_e64 s[0:1], 13, v15
	v_and_b32_e32 v11, 4, v10
	v_lshrrev_b32_e32 v19, 24, v1
	v_writelane_b32 v43, s0, 30
	v_cmp_eq_u32_e64 s[22:23], 7, v7
	v_cmp_eq_u32_e64 s[2:3], 8, v7
	v_writelane_b32 v43, s1, 31
	v_cmp_eq_u32_e64 s[0:1], 14, v15
	v_cmp_eq_u32_e64 s[90:91], 15, v4
	v_lshrrev_b32_e32 v20, 8, v2
	v_writelane_b32 v43, s0, 32
	v_cmp_eq_u32_e64 s[4:5], 9, v7
	s_bitcmp0_b32 s8, 0
	v_writelane_b32 v43, s1, 33
	v_cmp_eq_u32_e64 s[0:1], 0, v15
	v_lshrrev_b32_e32 v15, 8, v0
	v_cndmask_b32_e32 v27, v0, v15, vcc
	v_writelane_b32 v43, s0, 34
	v_writelane_b32 v41, vcc_lo, 8
	v_cndmask_b32_e64 v27, v27, v16, s[92:93]
	v_writelane_b32 v43, s1, 35
	v_cmp_eq_u32_e64 s[0:1], 1, v6
	v_writelane_b32 v41, vcc_hi, 9
	v_writelane_b32 v41, s92, 10
	v_writelane_b32 v43, s0, 36
	v_cndmask_b32_e64 v25, v27, v25, s[96:97]
	v_writelane_b32 v41, s93, 11
	v_writelane_b32 v43, s1, 37
	v_cmp_eq_u32_e64 s[0:1], 2, v6
	v_cndmask_b32_e64 v25, v25, v1, s[94:95]
	v_writelane_b32 v41, s94, 12
	v_writelane_b32 v43, s0, 38
	v_cndmask_b32_e64 v25, v25, v17, s[98:99]
	v_writelane_b32 v41, s95, 13
	v_writelane_b32 v43, s1, 39
	v_cmp_eq_u32_e64 s[0:1], 3, v6
	v_writelane_b32 v41, s96, 14
	v_cndmask_b32_e64 v25, v25, v18, s[78:79]
	v_writelane_b32 v43, s0, 40
	v_writelane_b32 v41, s97, 15
	;; [unrolled: 1-line block ×4, first 2 shown]
	v_cmp_eq_u32_e64 s[0:1], 4, v6
	v_cndmask_b32_e64 v25, v25, v19, s[22:23]
	v_writelane_b32 v41, s99, 17
	v_writelane_b32 v43, s0, 42
	v_cndmask_b32_e64 v25, v25, v2, s[2:3]
	v_writelane_b32 v41, s2, 18
	v_writelane_b32 v43, s1, 43
	v_cmp_eq_u32_e64 s[0:1], 5, v6
	v_writelane_b32 v41, s3, 19
	v_writelane_b32 v41, s78, 20
	;; [unrolled: 1-line block ×3, first 2 shown]
	v_lshrrev_b32_e32 v21, 16, v2
	v_cndmask_b32_e64 v25, v25, v20, s[4:5]
	v_writelane_b32 v43, s1, 45
	v_cmp_eq_u32_e64 s[0:1], 6, v6
	v_cmp_eq_u32_e64 s[8:9], 10, v7
	;; [unrolled: 1-line block ×3, first 2 shown]
	v_writelane_b32 v43, s0, 46
	v_writelane_b32 v41, s79, 21
	v_lshrrev_b32_e32 v26, 24, v2
	v_writelane_b32 v43, s1, 47
	v_cmp_eq_u32_e64 s[0:1], 7, v6
	v_cndmask_b32_e64 v25, v25, v21, s[8:9]
	v_cmp_eq_u32_e64 s[10:11], 11, v7
	v_writelane_b32 v43, s0, 48
	v_writelane_b32 v41, s22, 22
	v_cndmask_b32_e64 v25, v25, v26, s[10:11]
	v_writelane_b32 v43, s1, 49
	v_cmp_eq_u32_e64 s[0:1], 8, v6
	v_cmp_eq_u32_e64 s[6:7], 12, v7
	;; [unrolled: 1-line block ×3, first 2 shown]
	v_writelane_b32 v43, s0, 50
	v_writelane_b32 v41, s23, 23
	v_cndmask_b32_e64 v25, v25, v3, s[6:7]
	v_writelane_b32 v43, s1, 51
	v_cmp_eq_u32_e64 s[0:1], 9, v6
	v_writelane_b32 v41, s6, 24
	v_cmp_eq_u32_e64 s[88:89], 10, v5
	v_writelane_b32 v43, s0, 52
	v_writelane_b32 v41, s7, 25
	;; [unrolled: 1-line block ×4, first 2 shown]
	v_cmp_eq_u32_e64 s[0:1], 8, v5
	v_cmp_eq_u32_e64 s[86:87], 11, v5
	v_writelane_b32 v41, s5, 27
	v_writelane_b32 v43, s0, 54
	;; [unrolled: 1-line block ×3, first 2 shown]
	v_cmp_eq_u32_e64 s[84:85], 12, v5
	v_writelane_b32 v43, s1, 55
	v_cmp_eq_u32_e64 s[0:1], 0, v5
	v_writelane_b32 v41, s9, 29
	v_writelane_b32 v41, s10, 30
	;; [unrolled: 1-line block ×3, first 2 shown]
	v_lshrrev_b32_e32 v22, 8, v3
	v_cmp_eq_u32_e64 s[14:15], 13, v7
	v_writelane_b32 v43, s1, 57
	v_cmp_eq_u32_e64 s[0:1], 1, v4
	v_cmp_eq_u32_e64 s[80:81], 13, v5
	v_writelane_b32 v41, s11, 31
	v_writelane_b32 v43, s0, 58
	v_cndmask_b32_e64 v25, v25, v22, s[14:15]
	v_writelane_b32 v41, s14, 32
	v_writelane_b32 v43, s1, 59
	v_cmp_eq_u32_e64 s[0:1], 2, v4
	v_lshrrev_b32_e32 v23, 16, v3
	v_cmp_eq_u32_e64 s[12:13], 14, v7
	v_writelane_b32 v43, s0, 60
	v_cmp_eq_u32_e64 s[40:41], 14, v5
	v_writelane_b32 v41, s15, 33
	v_writelane_b32 v43, s1, 61
	v_cmp_eq_u32_e64 s[0:1], 3, v4
	v_lshrrev_b32_e32 v24, 24, v3
	v_cndmask_b32_e64 v25, v25, v23, s[12:13]
	v_writelane_b32 v43, s0, 62
	v_cmp_eq_u32_e64 s[18:19], 15, v7
	v_writelane_b32 v41, s12, 34
	v_writelane_b32 v43, s1, 63
	v_cmp_eq_u32_e64 s[0:1], 0, v4
	v_cndmask_b32_e64 v7, v25, v24, s[18:19]
	v_cmp_eq_u32_e64 s[76:77], 15, v5
	v_writelane_b32 v42, s0, 0
	v_writelane_b32 v41, s13, 35
	v_mov_b32_e32 v9, 0
	v_writelane_b32 v42, s1, 1
	v_writelane_b32 v42, s16, 2
	v_cmp_ne_u32_e64 s[0:1], 0, v11
	v_and_b32_e32 v25, 0xff, v7
	v_writelane_b32 v42, s17, 3
	v_writelane_b32 v42, s20, 4
	;; [unrolled: 1-line block ×3, first 2 shown]
	s_nop 0
	v_writelane_b32 v42, s21, 5
	v_writelane_b32 v42, s24, 6
	;; [unrolled: 1-line block ×3, first 2 shown]
	s_nop 0
	v_writelane_b32 v42, s25, 7
	v_writelane_b32 v42, s26, 8
	s_nop 1
	v_writelane_b32 v42, s27, 9
	v_writelane_b32 v42, s28, 10
	;; [unrolled: 3-line block ×28, first 2 shown]
	s_nop 1
	v_writelane_b32 v42, s77, 63
	s_cbranch_scc0 .LBB11_2
; %bb.1:
	ds_swizzle_b32 v6, v25 offset:swizzle(SWAP,8)
	v_lshrrev_b64 v[4:5], 24, v[2:3]
	s_waitcnt lgkmcnt(0)
	v_cndmask_b32_e64 v35, v3, v6, s[6:7]
	s_mov_b64 s[6:7], s[0:1]
	s_mov_b64 s[0:1], s[80:81]
	v_readlane_b32 s80, v43, 4
	v_cndmask_b32_e64 v28, v4, v6, s[10:11]
	v_lshrrev_b64 v[4:5], 24, v[0:1]
	v_readlane_b32 s81, v43, 5
	v_cndmask_b32_e64 v7, v24, v6, s[18:19]
	v_cndmask_b32_e64 v26, v23, v6, s[12:13]
	;; [unrolled: 1-line block ×10, first 2 shown]
	v_cndmask_b32_e32 v34, v15, v6, vcc
	v_cndmask_b32_e64 v36, v2, v6, s[2:3]
	v_cndmask_b32_e64 v37, v1, v6, s[94:95]
	;; [unrolled: 1-line block ×3, first 2 shown]
	v_readlane_b32 s80, v43, 6
	v_readlane_b32 s81, v43, 7
	;; [unrolled: 1-line block ×4, first 2 shown]
	v_cndmask_b32_e64 v38, v6, v34, s[80:81]
	v_readlane_b32 s22, v43, 10
	v_cndmask_b32_e64 v38, v38, v5, s[18:19]
	v_readlane_b32 s23, v43, 11
	v_readlane_b32 s78, v43, 12
	v_readlane_b32 s79, v43, 13
	v_cndmask_b32_e64 v38, v38, v4, s[22:23]
	v_readlane_b32 s92, v43, 14
	v_cndmask_b32_e64 v38, v38, v37, s[78:79]
	v_readlane_b32 s93, v43, 15
	v_readlane_b32 s94, v43, 16
	v_readlane_b32 s95, v43, 17
	;; [unrolled: 6-line block ×6, first 2 shown]
	v_cndmask_b32_e64 v38, v38, v27, s[12:13]
	v_cmp_eq_u32_e32 vcc, 15, v14
	v_cndmask_b32_e64 v38, v38, v26, s[14:15]
	v_cndmask_b32_e64 v38, v38, v7, s[16:17]
	v_and_b32_e32 v38, 0xff, v38
	ds_swizzle_b32 v38, v38 offset:swizzle(SWAP,8)
	s_waitcnt lgkmcnt(0)
	v_cndmask_b32_e64 v30, v30, v38, s[2:3]
	v_readlane_b32 s2, v43, 34
	v_cndmask_b32_e64 v29, v29, v38, s[4:5]
	v_readlane_b32 s3, v43, 35
	v_readlane_b32 s4, v43, 36
	v_cndmask_b32_e64 v34, v34, v38, s[80:81]
	v_cndmask_b32_e64 v6, v6, v38, s[2:3]
	v_readlane_b32 s5, v43, 37
	v_readlane_b32 s2, v43, 38
	v_cndmask_b32_e64 v7, v7, v38, s[16:17]
	v_cndmask_b32_e64 v26, v26, v38, s[14:15]
	;; [unrolled: 1-line block ×13, first 2 shown]
	v_readlane_b32 s3, v43, 39
	v_readlane_b32 s8, v43, 40
	v_readlane_b32 s9, v43, 41
	v_cndmask_b32_e64 v38, v38, v5, s[2:3]
	v_readlane_b32 s10, v43, 42
	v_cndmask_b32_e64 v38, v38, v4, s[8:9]
	v_readlane_b32 s11, v43, 43
	v_readlane_b32 s12, v43, 44
	v_readlane_b32 s13, v43, 45
	v_cndmask_b32_e64 v38, v38, v37, s[10:11]
	v_readlane_b32 s14, v43, 46
	v_cndmask_b32_e64 v38, v38, v33, s[12:13]
	;; [unrolled: 6-line block ×3, first 2 shown]
	v_readlane_b32 s19, v43, 51
	v_readlane_b32 s22, v43, 52
	;; [unrolled: 1-line block ×3, first 2 shown]
	v_cndmask_b32_e64 v38, v38, v36, s[18:19]
	v_cmp_eq_u32_e64 s[80:81], 9, v14
	v_cndmask_b32_e64 v38, v38, v30, s[22:23]
	v_cndmask_b32_e64 v38, v38, v29, s[24:25]
	;; [unrolled: 1-line block ×7, first 2 shown]
	v_and_b32_e32 v38, 0xff, v38
	ds_swizzle_b32 v38, v38 offset:swizzle(SWAP,8)
	s_waitcnt lgkmcnt(0)
	v_cndmask_b32_e64 v34, v34, v38, s[4:5]
	v_cndmask_b32_e64 v6, v6, v38, s[74:75]
	;; [unrolled: 1-line block ×22, first 2 shown]
	v_readlane_b32 s2, v43, 54
	v_cndmask_b32_e64 v38, v38, v31, s[82:83]
	v_readlane_b32 s3, v43, 55
	v_readlane_b32 s4, v43, 62
	;; [unrolled: 1-line block ×3, first 2 shown]
	v_cndmask_b32_e64 v38, v38, v36, s[2:3]
	v_cndmask_b32_e64 v38, v38, v30, s[72:73]
	;; [unrolled: 1-line block ×8, first 2 shown]
	v_and_b32_e32 v38, 0xff, v38
	ds_swizzle_b32 v38, v38 offset:swizzle(SWAP,8)
	v_readlane_b32 s2, v43, 54
	v_readlane_b32 s3, v43, 55
	v_cmp_eq_u32_e64 s[62:63], 2, v14
	v_cmp_eq_u32_e64 s[68:69], 4, v14
	s_waitcnt lgkmcnt(0)
	v_cndmask_b32_e64 v36, v36, v38, s[2:3]
	v_readlane_b32 s2, v43, 56
	v_cndmask_b32_e64 v27, v27, v38, s[0:1]
	v_readlane_b32 s3, v43, 57
	v_readlane_b32 s0, v43, 58
	v_cndmask_b32_e64 v34, v34, v38, s[44:45]
	v_cndmask_b32_e64 v6, v6, v38, s[2:3]
	v_readlane_b32 s1, v43, 59
	v_readlane_b32 s2, v43, 60
	v_cndmask_b32_e64 v7, v7, v38, s[76:77]
	v_cndmask_b32_e64 v26, v26, v38, s[40:41]
	;; [unrolled: 1-line block ×13, first 2 shown]
	v_readlane_b32 s3, v43, 61
	v_cmp_eq_u32_e64 s[64:65], 1, v14
	v_cmp_eq_u32_e64 s[70:71], 5, v14
	v_cndmask_b32_e64 v38, v38, v5, s[2:3]
	v_cndmask_b32_e64 v38, v38, v4, s[4:5]
	v_cndmask_b32_e64 v38, v38, v37, s[20:21]
	v_cndmask_b32_e64 v38, v38, v33, s[26:27]
	v_cndmask_b32_e64 v38, v38, v32, s[30:31]
	v_cndmask_b32_e64 v38, v38, v31, s[36:37]
	v_cndmask_b32_e64 v38, v38, v36, s[38:39]
	v_cndmask_b32_e64 v38, v38, v30, s[42:43]
	v_cndmask_b32_e64 v38, v38, v29, s[46:47]
	v_cndmask_b32_e64 v38, v38, v28, s[50:51]
	v_cndmask_b32_e64 v38, v38, v35, s[54:55]
	v_cndmask_b32_e64 v38, v38, v27, s[58:59]
	v_cndmask_b32_e64 v38, v38, v26, s[66:67]
	v_cndmask_b32_e64 v38, v38, v7, s[90:91]
	v_and_b32_e32 v38, 0xff, v38
	ds_swizzle_b32 v38, v38 offset:swizzle(SWAP,8)
	v_cmp_eq_u32_e64 s[72:73], 6, v14
	v_cmp_eq_u32_e64 s[74:75], 7, v14
	;; [unrolled: 1-line block ×4, first 2 shown]
	s_waitcnt lgkmcnt(0)
	v_cndmask_b32_e64 v34, v34, v38, s[0:1]
	v_readlane_b32 s0, v42, 0
	v_readlane_b32 s1, v42, 1
	v_cndmask_b32_e64 v7, v7, v38, s[90:91]
	v_cndmask_b32_e64 v26, v26, v38, s[66:67]
	v_cndmask_b32_e64 v6, v6, v38, s[0:1]
	v_cndmask_b32_e64 v27, v27, v38, s[58:59]
	v_cndmask_b32_e64 v35, v35, v38, s[54:55]
	v_cndmask_b32_e64 v28, v28, v38, s[50:51]
	v_cndmask_b32_e64 v29, v29, v38, s[46:47]
	v_cndmask_b32_e64 v30, v30, v38, s[42:43]
	v_cndmask_b32_e64 v36, v36, v38, s[38:39]
	v_cndmask_b32_e64 v31, v31, v38, s[36:37]
	v_cndmask_b32_e64 v32, v32, v38, s[30:31]
	v_cndmask_b32_e64 v33, v33, v38, s[26:27]
	v_cndmask_b32_e64 v37, v37, v38, s[20:21]
	v_cndmask_b32_e64 v4, v4, v38, s[4:5]
	v_cndmask_b32_e64 v5, v5, v38, s[2:3]
	v_cndmask_b32_e64 v38, v6, v34, s[64:65]
	v_cndmask_b32_e64 v38, v38, v5, s[62:63]
	v_cmp_eq_u32_e64 s[66:67], 3, v14
	v_cmp_eq_u32_e64 s[84:85], 11, v14
	;; [unrolled: 1-line block ×3, first 2 shown]
	v_cndmask_b32_e64 v38, v38, v4, s[66:67]
	v_cndmask_b32_e64 v38, v38, v37, s[68:69]
	;; [unrolled: 1-line block ×10, first 2 shown]
	v_cmp_eq_u32_e64 s[88:89], 13, v14
	v_cmp_eq_u32_e64 s[90:91], 14, v14
	s_nop 0
	v_cndmask_b32_e64 v38, v38, v27, s[88:89]
	v_cndmask_b32_e64 v38, v38, v26, s[90:91]
	v_cndmask_b32_e32 v38, v38, v7, vcc
	v_and_b32_e32 v38, 0xff, v38
	ds_swizzle_b32 v38, v38 offset:swizzle(SWAP,8)
	s_waitcnt lgkmcnt(0)
	v_cndmask_b32_e32 v7, v7, v38, vcc
	v_cmp_eq_u32_e32 vcc, 0, v14
	v_cndmask_b32_e64 v34, v34, v38, s[64:65]
	v_cndmask_b32_e64 v26, v26, v38, s[90:91]
	v_cndmask_b32_e32 v6, v6, v38, vcc
	v_cmp_eq_u32_e32 vcc, 1, v13
	v_cndmask_b32_e64 v27, v27, v38, s[88:89]
	v_cndmask_b32_e64 v35, v35, v38, s[86:87]
	;; [unrolled: 1-line block ×12, first 2 shown]
	v_cndmask_b32_e32 v38, v6, v34, vcc
	v_cmp_eq_u32_e64 s[62:63], 2, v13
	v_cmp_eq_u32_e64 s[64:65], 3, v13
	v_cmp_eq_u32_e64 s[66:67], 4, v13
	v_cndmask_b32_e64 v38, v38, v5, s[62:63]
	v_cndmask_b32_e64 v38, v38, v4, s[64:65]
	v_cndmask_b32_e64 v38, v38, v37, s[66:67]
	v_cmp_eq_u32_e64 s[68:69], 5, v13
	v_cmp_eq_u32_e64 s[70:71], 6, v13
	v_cmp_eq_u32_e64 s[72:73], 7, v13
	v_cndmask_b32_e64 v38, v38, v33, s[68:69]
	v_cndmask_b32_e64 v38, v38, v32, s[70:71]
	v_cndmask_b32_e64 v38, v38, v31, s[72:73]
	;; [unrolled: 6-line block ×4, first 2 shown]
	v_cmp_eq_u32_e64 s[88:89], 14, v13
	v_cmp_eq_u32_e64 s[90:91], 15, v13
	s_nop 0
	v_cndmask_b32_e64 v38, v38, v26, s[88:89]
	v_cndmask_b32_e64 v38, v38, v7, s[90:91]
	v_and_b32_e32 v38, 0xff, v38
	ds_swizzle_b32 v38, v38 offset:swizzle(SWAP,8)
	s_waitcnt lgkmcnt(0)
	v_cndmask_b32_e32 v34, v34, v38, vcc
	v_cmp_eq_u32_e32 vcc, 0, v13
	v_cndmask_b32_e64 v7, v7, v38, s[90:91]
	v_cndmask_b32_e64 v26, v26, v38, s[88:89]
	v_cndmask_b32_e32 v6, v6, v38, vcc
	v_cmp_eq_u32_e32 vcc, 1, v12
	v_cndmask_b32_e64 v27, v27, v38, s[86:87]
	v_cndmask_b32_e64 v35, v35, v38, s[84:85]
	;; [unrolled: 1-line block ×12, first 2 shown]
	v_cndmask_b32_e32 v38, v6, v34, vcc
	v_cmp_eq_u32_e64 s[62:63], 2, v12
	v_cmp_eq_u32_e64 s[64:65], 3, v12
	v_cmp_eq_u32_e64 s[66:67], 4, v12
	v_cndmask_b32_e64 v38, v38, v5, s[62:63]
	v_cndmask_b32_e64 v38, v38, v4, s[64:65]
	v_cndmask_b32_e64 v38, v38, v37, s[66:67]
	v_cmp_eq_u32_e64 s[68:69], 5, v12
	v_cmp_eq_u32_e64 s[70:71], 6, v12
	v_cmp_eq_u32_e64 s[72:73], 7, v12
	v_cndmask_b32_e64 v38, v38, v33, s[68:69]
	v_cndmask_b32_e64 v38, v38, v32, s[70:71]
	v_cndmask_b32_e64 v38, v38, v31, s[72:73]
	;; [unrolled: 6-line block ×4, first 2 shown]
	v_cmp_eq_u32_e64 s[88:89], 14, v12
	v_cmp_eq_u32_e64 s[90:91], 15, v12
	s_nop 0
	v_cndmask_b32_e64 v38, v38, v26, s[88:89]
	v_cndmask_b32_e64 v38, v38, v7, s[90:91]
	v_and_b32_e32 v38, 0xff, v38
	ds_swizzle_b32 v38, v38 offset:swizzle(SWAP,8)
	s_waitcnt lgkmcnt(0)
	v_cndmask_b32_e32 v34, v34, v38, vcc
	v_cmp_eq_u32_e32 vcc, 0, v12
	v_cndmask_b32_e64 v7, v7, v38, s[90:91]
	v_cndmask_b32_e64 v26, v26, v38, s[88:89]
	v_cndmask_b32_e64 v27, v27, v38, s[86:87]
	v_cndmask_b32_e64 v35, v35, v38, s[84:85]
	v_cndmask_b32_e64 v28, v28, v38, s[82:83]
	v_cndmask_b32_e64 v29, v29, v38, s[80:81]
	v_cndmask_b32_e64 v30, v30, v38, s[76:77]
	v_cndmask_b32_e64 v36, v36, v38, s[74:75]
	v_cndmask_b32_e64 v31, v31, v38, s[72:73]
	v_cndmask_b32_e64 v32, v32, v38, s[70:71]
	v_cndmask_b32_e64 v33, v33, v38, s[68:69]
	v_cndmask_b32_e64 v37, v37, v38, s[66:67]
	v_cndmask_b32_e64 v4, v4, v38, s[64:65]
	v_cndmask_b32_e64 v5, v5, v38, s[62:63]
	v_cndmask_b32_e32 v6, v6, v38, vcc
	v_xor_b32_e32 v38, 4, v11
	v_cmp_eq_u32_e32 vcc, 1, v38
	v_cmp_eq_u32_e64 s[62:63], 2, v38
	v_cmp_eq_u32_e64 s[64:65], 3, v38
	v_cndmask_b32_e32 v39, v6, v34, vcc
	v_cndmask_b32_e64 v39, v39, v5, s[62:63]
	v_cndmask_b32_e64 v39, v39, v4, s[64:65]
	v_cmp_eq_u32_e64 s[66:67], 4, v38
	v_cmp_eq_u32_e64 s[68:69], 5, v38
	v_cmp_eq_u32_e64 s[70:71], 6, v38
	v_cndmask_b32_e64 v39, v39, v37, s[66:67]
	v_cndmask_b32_e64 v39, v39, v33, s[68:69]
	v_cndmask_b32_e64 v39, v39, v32, s[70:71]
	v_cmp_eq_u32_e64 s[72:73], 7, v38
	v_cmp_eq_u32_e64 s[74:75], 8, v38
	v_cmp_eq_u32_e64 s[76:77], 9, v38
	v_cndmask_b32_e64 v39, v39, v31, s[72:73]
	;; [unrolled: 6-line block ×4, first 2 shown]
	v_cndmask_b32_e64 v39, v39, v26, s[88:89]
	v_cndmask_b32_e64 v39, v39, v7, s[90:91]
	v_and_b32_e32 v39, 0xff, v39
	ds_swizzle_b32 v39, v39 offset:swizzle(SWAP,4)
	s_waitcnt lgkmcnt(0)
	v_cndmask_b32_e32 v34, v34, v39, vcc
	v_cmp_eq_u32_e32 vcc, 0, v38
	v_cndmask_b32_e64 v7, v7, v39, s[90:91]
	v_cndmask_b32_e64 v26, v26, v39, s[88:89]
	v_cndmask_b32_e32 v6, v6, v39, vcc
	v_cmp_eq_u32_e32 vcc, 0, v11
	v_cndmask_b32_e64 v27, v27, v39, s[86:87]
	v_cndmask_b32_e64 v35, v35, v39, s[84:85]
	;; [unrolled: 1-line block ×12, first 2 shown]
	v_cndmask_b32_e64 v39, 1, 5, vcc
	v_cndmask_b32_e64 v38, v6, v34, s[6:7]
	v_cmp_eq_u32_e64 s[62:63], 2, v39
	v_cmp_eq_u32_e64 s[64:65], 3, v39
	;; [unrolled: 1-line block ×3, first 2 shown]
	v_cndmask_b32_e64 v38, v38, v5, s[62:63]
	v_cndmask_b32_e64 v38, v38, v4, s[64:65]
	;; [unrolled: 1-line block ×3, first 2 shown]
	v_cndmask_b32_e32 v38, v38, v33, vcc
	v_cmp_eq_u32_e64 s[68:69], 6, v39
	v_cmp_eq_u32_e64 s[70:71], 7, v39
	v_cmp_eq_u32_e64 s[72:73], 8, v39
	v_cndmask_b32_e64 v38, v38, v32, s[68:69]
	v_cndmask_b32_e64 v38, v38, v31, s[70:71]
	v_cndmask_b32_e64 v38, v38, v36, s[72:73]
	v_cmp_eq_u32_e64 s[74:75], 9, v39
	v_cmp_eq_u32_e64 s[76:77], 10, v39
	v_cmp_eq_u32_e64 s[80:81], 11, v39
	v_cndmask_b32_e64 v38, v38, v30, s[74:75]
	v_cndmask_b32_e64 v38, v38, v29, s[76:77]
	v_cndmask_b32_e64 v38, v38, v28, s[80:81]
	;; [unrolled: 6-line block ×3, first 2 shown]
	v_cmp_eq_u32_e64 s[88:89], 15, v39
	s_nop 1
	v_cndmask_b32_e64 v38, v38, v7, s[88:89]
	v_and_b32_e32 v38, 0xff, v38
	ds_swizzle_b32 v38, v38 offset:swizzle(SWAP,4)
	s_waitcnt lgkmcnt(0)
	v_cndmask_b32_e64 v5, v5, v38, s[62:63]
	v_cmp_eq_u32_e64 s[62:63], 0, v39
	v_cndmask_b32_e64 v7, v7, v38, s[88:89]
	v_cndmask_b32_e64 v26, v26, v38, s[86:87]
	;; [unrolled: 1-line block ×13, first 2 shown]
	v_cndmask_b32_e32 v33, v33, v38, vcc
	v_cndmask_b32_e64 v34, v34, v38, s[6:7]
	v_cndmask_b32_e64 v38, 2, 6, vcc
	v_cmp_eq_u32_e64 s[62:63], 1, v38
	v_cmp_eq_u32_e64 s[64:65], 3, v38
	;; [unrolled: 1-line block ×3, first 2 shown]
	v_cndmask_b32_e64 v39, v6, v34, s[62:63]
	v_cndmask_b32_e64 v39, v39, v5, s[6:7]
	;; [unrolled: 1-line block ×4, first 2 shown]
	v_cmp_eq_u32_e64 s[68:69], 5, v38
	v_cmp_eq_u32_e64 s[70:71], 7, v38
	;; [unrolled: 1-line block ×3, first 2 shown]
	v_cndmask_b32_e64 v39, v39, v33, s[68:69]
	v_cndmask_b32_e32 v39, v39, v32, vcc
	v_cndmask_b32_e64 v39, v39, v31, s[70:71]
	v_cndmask_b32_e64 v39, v39, v36, s[72:73]
	v_cmp_eq_u32_e64 s[74:75], 9, v38
	v_cmp_eq_u32_e64 s[76:77], 10, v38
	;; [unrolled: 1-line block ×3, first 2 shown]
	v_cndmask_b32_e64 v39, v39, v30, s[74:75]
	v_cndmask_b32_e64 v39, v39, v29, s[76:77]
	;; [unrolled: 1-line block ×3, first 2 shown]
	v_cmp_eq_u32_e64 s[82:83], 12, v38
	v_cmp_eq_u32_e64 s[84:85], 13, v38
	;; [unrolled: 1-line block ×3, first 2 shown]
	v_cndmask_b32_e64 v39, v39, v35, s[82:83]
	v_cndmask_b32_e64 v39, v39, v27, s[84:85]
	;; [unrolled: 1-line block ×3, first 2 shown]
	v_cmp_eq_u32_e64 s[88:89], 15, v38
	s_nop 1
	v_cndmask_b32_e64 v39, v39, v7, s[88:89]
	v_and_b32_e32 v39, 0xff, v39
	ds_swizzle_b32 v39, v39 offset:swizzle(SWAP,4)
	s_waitcnt lgkmcnt(0)
	v_cndmask_b32_e64 v34, v34, v39, s[62:63]
	v_cmp_eq_u32_e64 s[62:63], 0, v38
	v_cndmask_b32_e64 v38, 3, 7, vcc
	v_cndmask_b32_e64 v7, v7, v39, s[88:89]
	v_cndmask_b32_e64 v6, v6, v39, s[62:63]
	v_cmp_eq_u32_e64 s[62:63], 1, v38
	v_cndmask_b32_e64 v26, v26, v39, s[86:87]
	v_cndmask_b32_e64 v27, v27, v39, s[84:85]
	;; [unrolled: 1-line block ×11, first 2 shown]
	v_cndmask_b32_e32 v32, v32, v39, vcc
	v_cndmask_b32_e64 v5, v5, v39, s[6:7]
	v_cndmask_b32_e64 v39, v6, v34, s[62:63]
	v_cmp_eq_u32_e64 s[64:65], 2, v38
	v_cmp_eq_u32_e64 s[66:67], 4, v38
	;; [unrolled: 1-line block ×3, first 2 shown]
	v_cndmask_b32_e64 v39, v39, v5, s[64:65]
	v_cndmask_b32_e64 v39, v39, v4, s[6:7]
	;; [unrolled: 1-line block ×4, first 2 shown]
	v_cmp_eq_u32_e64 s[70:71], 6, v38
	v_cmp_eq_u32_e64 s[72:73], 8, v38
	;; [unrolled: 1-line block ×3, first 2 shown]
	v_cndmask_b32_e64 v39, v39, v32, s[70:71]
	v_cndmask_b32_e32 v39, v39, v31, vcc
	v_cndmask_b32_e64 v39, v39, v36, s[72:73]
	v_cndmask_b32_e64 v39, v39, v30, s[74:75]
	v_cmp_eq_u32_e64 s[76:77], 10, v38
	v_cmp_eq_u32_e64 s[80:81], 11, v38
	;; [unrolled: 1-line block ×3, first 2 shown]
	v_cndmask_b32_e64 v39, v39, v29, s[76:77]
	v_cndmask_b32_e64 v39, v39, v28, s[80:81]
	;; [unrolled: 1-line block ×3, first 2 shown]
	v_cmp_eq_u32_e64 s[84:85], 13, v38
	v_cmp_eq_u32_e64 s[86:87], 14, v38
	;; [unrolled: 1-line block ×3, first 2 shown]
	v_cndmask_b32_e64 v39, v39, v27, s[84:85]
	v_cndmask_b32_e64 v39, v39, v26, s[86:87]
	;; [unrolled: 1-line block ×3, first 2 shown]
	v_and_b32_e32 v39, 0xff, v39
	ds_swizzle_b32 v39, v39 offset:swizzle(SWAP,4)
	s_waitcnt lgkmcnt(0)
	v_cndmask_b32_e64 v34, v34, v39, s[62:63]
	v_cmp_eq_u32_e64 s[62:63], 0, v38
	v_cndmask_b32_e64 v38, 8, 12, vcc
	v_cndmask_b32_e64 v7, v7, v39, s[88:89]
	v_cndmask_b32_e64 v6, v6, v39, s[62:63]
	v_cmp_eq_u32_e64 s[62:63], 1, v38
	v_cndmask_b32_e64 v26, v26, v39, s[86:87]
	v_cndmask_b32_e64 v27, v27, v39, s[84:85]
	;; [unrolled: 1-line block ×11, first 2 shown]
	v_cndmask_b32_e32 v31, v31, v39, vcc
	v_cndmask_b32_e64 v4, v4, v39, s[6:7]
	v_cndmask_b32_e64 v39, v6, v34, s[62:63]
	v_cmp_eq_u32_e64 s[64:65], 2, v38
	v_cmp_eq_u32_e64 s[66:67], 3, v38
	;; [unrolled: 1-line block ×3, first 2 shown]
	v_cndmask_b32_e64 v39, v39, v5, s[64:65]
	v_cndmask_b32_e64 v39, v39, v4, s[66:67]
	;; [unrolled: 1-line block ×3, first 2 shown]
	v_cmp_eq_u32_e64 s[70:71], 5, v38
	v_cmp_eq_u32_e64 s[72:73], 6, v38
	;; [unrolled: 1-line block ×3, first 2 shown]
	v_cndmask_b32_e64 v39, v39, v33, s[70:71]
	v_cndmask_b32_e64 v39, v39, v32, s[72:73]
	;; [unrolled: 1-line block ×4, first 2 shown]
	v_cmp_eq_u32_e64 s[76:77], 9, v38
	v_cmp_eq_u32_e64 s[80:81], 10, v38
	;; [unrolled: 1-line block ×3, first 2 shown]
	v_cndmask_b32_e64 v39, v39, v30, s[76:77]
	v_cndmask_b32_e64 v39, v39, v29, s[80:81]
	;; [unrolled: 1-line block ×3, first 2 shown]
	v_cndmask_b32_e32 v39, v39, v35, vcc
	v_cmp_eq_u32_e64 s[84:85], 13, v38
	v_cmp_eq_u32_e64 s[86:87], 14, v38
	;; [unrolled: 1-line block ×3, first 2 shown]
	v_cndmask_b32_e64 v39, v39, v27, s[84:85]
	v_cndmask_b32_e64 v39, v39, v26, s[86:87]
	;; [unrolled: 1-line block ×3, first 2 shown]
	v_and_b32_e32 v39, 0xff, v39
	ds_swizzle_b32 v39, v39 offset:swizzle(SWAP,4)
	s_waitcnt lgkmcnt(0)
	v_cndmask_b32_e64 v34, v34, v39, s[62:63]
	v_cmp_eq_u32_e64 s[62:63], 0, v38
	v_cndmask_b32_e64 v38, 9, 13, vcc
	v_cndmask_b32_e64 v7, v7, v39, s[88:89]
	v_cndmask_b32_e64 v6, v6, v39, s[62:63]
	v_cmp_eq_u32_e64 s[62:63], 1, v38
	v_cndmask_b32_e64 v26, v26, v39, s[86:87]
	v_cndmask_b32_e64 v27, v27, v39, s[84:85]
	;; [unrolled: 1-line block ×11, first 2 shown]
	v_cndmask_b32_e32 v35, v35, v39, vcc
	v_cndmask_b32_e64 v36, v36, v39, s[6:7]
	v_cndmask_b32_e64 v39, v6, v34, s[62:63]
	v_cmp_eq_u32_e64 s[64:65], 2, v38
	v_cmp_eq_u32_e64 s[66:67], 3, v38
	v_cmp_eq_u32_e64 s[68:69], 4, v38
	v_cndmask_b32_e64 v39, v39, v5, s[64:65]
	v_cndmask_b32_e64 v39, v39, v4, s[66:67]
	v_cndmask_b32_e64 v39, v39, v37, s[68:69]
	v_cmp_eq_u32_e64 s[70:71], 5, v38
	v_cmp_eq_u32_e64 s[72:73], 6, v38
	v_cmp_eq_u32_e64 s[74:75], 7, v38
	v_cndmask_b32_e64 v39, v39, v33, s[70:71]
	;; [unrolled: 6-line block ×3, first 2 shown]
	v_cndmask_b32_e64 v39, v39, v30, s[6:7]
	v_cndmask_b32_e64 v39, v39, v29, s[80:81]
	;; [unrolled: 1-line block ×3, first 2 shown]
	v_cmp_eq_u32_e64 s[84:85], 12, v38
	v_cmp_eq_u32_e64 s[86:87], 14, v38
	;; [unrolled: 1-line block ×3, first 2 shown]
	v_cndmask_b32_e64 v39, v39, v35, s[84:85]
	v_cndmask_b32_e32 v39, v39, v27, vcc
	v_cndmask_b32_e64 v39, v39, v26, s[86:87]
	v_cndmask_b32_e64 v39, v39, v7, s[88:89]
	v_and_b32_e32 v39, 0xff, v39
	ds_swizzle_b32 v39, v39 offset:swizzle(SWAP,4)
	s_waitcnt lgkmcnt(0)
	v_cndmask_b32_e64 v34, v34, v39, s[62:63]
	v_cmp_eq_u32_e64 s[62:63], 0, v38
	v_cndmask_b32_e64 v38, 10, 14, vcc
	v_cndmask_b32_e64 v7, v7, v39, s[88:89]
	v_cndmask_b32_e64 v6, v6, v39, s[62:63]
	v_cmp_eq_u32_e64 s[62:63], 1, v38
	v_cndmask_b32_e64 v26, v26, v39, s[86:87]
	v_cndmask_b32_e64 v35, v35, v39, s[84:85]
	;; [unrolled: 1-line block ×11, first 2 shown]
	v_cndmask_b32_e32 v27, v27, v39, vcc
	v_cndmask_b32_e64 v30, v30, v39, s[6:7]
	v_cndmask_b32_e64 v39, v6, v34, s[62:63]
	v_cmp_eq_u32_e64 s[64:65], 2, v38
	v_cmp_eq_u32_e64 s[66:67], 3, v38
	v_cmp_eq_u32_e64 s[68:69], 4, v38
	v_cndmask_b32_e64 v39, v39, v5, s[64:65]
	v_cndmask_b32_e64 v39, v39, v4, s[66:67]
	v_cndmask_b32_e64 v39, v39, v37, s[68:69]
	v_cmp_eq_u32_e64 s[70:71], 5, v38
	v_cmp_eq_u32_e64 s[72:73], 6, v38
	v_cmp_eq_u32_e64 s[74:75], 7, v38
	v_cndmask_b32_e64 v39, v39, v33, s[70:71]
	v_cndmask_b32_e64 v39, v39, v32, s[72:73]
	v_cndmask_b32_e64 v39, v39, v31, s[74:75]
	v_cmp_eq_u32_e64 s[76:77], 8, v38
	v_cmp_eq_u32_e64 s[80:81], 9, v38
	v_cmp_eq_u32_e64 s[82:83], 11, v38
	v_cndmask_b32_e64 v39, v39, v36, s[76:77]
	v_cndmask_b32_e64 v39, v39, v30, s[80:81]
	v_cndmask_b32_e64 v39, v39, v29, s[6:7]
	v_cndmask_b32_e64 v39, v39, v28, s[82:83]
	v_cmp_eq_u32_e64 s[84:85], 12, v38
	v_cmp_eq_u32_e64 s[86:87], 13, v38
	;; [unrolled: 1-line block ×3, first 2 shown]
	v_cndmask_b32_e64 v39, v39, v35, s[84:85]
	v_cndmask_b32_e64 v39, v39, v27, s[86:87]
	v_cndmask_b32_e32 v39, v39, v26, vcc
	v_cndmask_b32_e64 v39, v39, v7, s[88:89]
	v_and_b32_e32 v39, 0xff, v39
	ds_swizzle_b32 v39, v39 offset:swizzle(SWAP,4)
	s_waitcnt lgkmcnt(0)
	v_cndmask_b32_e64 v34, v34, v39, s[62:63]
	v_cmp_eq_u32_e64 s[62:63], 0, v38
	v_cndmask_b32_e64 v38, 11, 15, vcc
	v_cndmask_b32_e64 v7, v7, v39, s[88:89]
	v_cndmask_b32_e64 v6, v6, v39, s[62:63]
	v_cmp_eq_u32_e64 s[62:63], 1, v38
	v_cndmask_b32_e64 v27, v27, v39, s[86:87]
	v_cndmask_b32_e64 v35, v35, v39, s[84:85]
	v_cndmask_b32_e64 v28, v28, v39, s[82:83]
	v_cndmask_b32_e64 v30, v30, v39, s[80:81]
	v_cndmask_b32_e64 v36, v36, v39, s[76:77]
	v_cndmask_b32_e64 v31, v31, v39, s[74:75]
	v_cndmask_b32_e64 v32, v32, v39, s[72:73]
	v_cndmask_b32_e64 v33, v33, v39, s[70:71]
	v_cndmask_b32_e64 v37, v37, v39, s[68:69]
	v_cndmask_b32_e64 v4, v4, v39, s[66:67]
	v_cndmask_b32_e64 v5, v5, v39, s[64:65]
	v_cndmask_b32_e32 v26, v26, v39, vcc
	v_cndmask_b32_e64 v29, v29, v39, s[6:7]
	v_cndmask_b32_e64 v39, v6, v34, s[62:63]
	v_cmp_eq_u32_e64 s[64:65], 2, v38
	v_cmp_eq_u32_e64 s[66:67], 3, v38
	v_cmp_eq_u32_e64 s[68:69], 4, v38
	v_cndmask_b32_e64 v39, v39, v5, s[64:65]
	v_cndmask_b32_e64 v39, v39, v4, s[66:67]
	v_cndmask_b32_e64 v39, v39, v37, s[68:69]
	v_cmp_eq_u32_e64 s[70:71], 5, v38
	v_cmp_eq_u32_e64 s[72:73], 6, v38
	v_cmp_eq_u32_e64 s[74:75], 7, v38
	v_cndmask_b32_e64 v39, v39, v33, s[70:71]
	;; [unrolled: 6-line block ×3, first 2 shown]
	v_cndmask_b32_e64 v39, v39, v30, s[80:81]
	v_cndmask_b32_e64 v39, v39, v29, s[82:83]
	;; [unrolled: 1-line block ×3, first 2 shown]
	v_cmp_eq_u32_e64 s[84:85], 12, v38
	v_cmp_eq_u32_e64 s[86:87], 13, v38
	v_cmp_eq_u32_e64 s[88:89], 14, v38
	v_cndmask_b32_e64 v39, v39, v35, s[84:85]
	v_cndmask_b32_e64 v39, v39, v27, s[86:87]
	;; [unrolled: 1-line block ×3, first 2 shown]
	v_cndmask_b32_e32 v39, v39, v7, vcc
	v_and_b32_e32 v39, 0xff, v39
	ds_swizzle_b32 v39, v39 offset:swizzle(SWAP,4)
	s_waitcnt lgkmcnt(0)
	v_cndmask_b32_e32 v7, v7, v39, vcc
	v_cmp_eq_u32_e32 vcc, 0, v38
	v_and_b32_e32 v38, 2, v10
	v_cndmask_b32_e64 v26, v26, v39, s[88:89]
	v_cndmask_b32_e64 v27, v27, v39, s[86:87]
	;; [unrolled: 1-line block ×13, first 2 shown]
	v_cndmask_b32_e32 v6, v6, v39, vcc
	v_cndmask_b32_e64 v28, v28, v39, s[6:7]
	v_xor_b32_e32 v39, 2, v38
	v_cmp_eq_u32_e32 vcc, 1, v39
	v_cmp_eq_u32_e64 s[62:63], 2, v39
	v_cmp_eq_u32_e64 s[64:65], 3, v39
	v_cndmask_b32_e32 v40, v6, v34, vcc
	v_cndmask_b32_e64 v40, v40, v5, s[62:63]
	v_cndmask_b32_e64 v40, v40, v4, s[64:65]
	v_cmp_eq_u32_e64 s[66:67], 4, v39
	v_cmp_eq_u32_e64 s[68:69], 5, v39
	v_cmp_eq_u32_e64 s[70:71], 6, v39
	v_cndmask_b32_e64 v40, v40, v37, s[66:67]
	v_cndmask_b32_e64 v40, v40, v33, s[68:69]
	v_cndmask_b32_e64 v40, v40, v32, s[70:71]
	v_cmp_eq_u32_e64 s[72:73], 7, v39
	v_cmp_eq_u32_e64 s[74:75], 8, v39
	v_cmp_eq_u32_e64 s[76:77], 9, v39
	v_cndmask_b32_e64 v40, v40, v31, s[72:73]
	;; [unrolled: 6-line block ×4, first 2 shown]
	v_cndmask_b32_e64 v40, v40, v26, s[88:89]
	v_cndmask_b32_e64 v40, v40, v7, s[90:91]
	v_and_b32_e32 v40, 0xff, v40
	ds_swizzle_b32 v40, v40 offset:swizzle(SWAP,2)
	s_waitcnt lgkmcnt(0)
	v_cndmask_b32_e64 v5, v5, v40, s[62:63]
	v_cndmask_b32_e32 v34, v34, v40, vcc
	v_cmp_eq_u32_e32 vcc, 0, v39
	v_cmp_eq_u32_e64 s[62:63], 0, v38
	v_cndmask_b32_e64 v4, v4, v40, s[64:65]
	v_cndmask_b32_e32 v6, v6, v40, vcc
	v_cmp_ne_u32_e32 vcc, 0, v38
	v_cndmask_b32_e64 v38, 1, 3, s[62:63]
	v_cmp_eq_u32_e64 s[64:65], 2, v38
	v_cndmask_b32_e32 v39, v6, v34, vcc
	v_cndmask_b32_e64 v37, v37, v40, s[66:67]
	v_cndmask_b32_e64 v39, v39, v5, s[64:65]
	v_cndmask_b32_e64 v39, v39, v4, s[62:63]
	v_cmp_eq_u32_e64 s[66:67], 4, v38
	v_cndmask_b32_e64 v33, v33, v40, s[68:69]
	v_cmp_eq_u32_e64 s[68:69], 5, v38
	v_cndmask_b32_e64 v39, v39, v37, s[66:67]
	v_cndmask_b32_e64 v32, v32, v40, s[70:71]
	v_cndmask_b32_e64 v39, v39, v33, s[68:69]
	v_cmp_eq_u32_e64 s[70:71], 6, v38
	v_cndmask_b32_e64 v31, v31, v40, s[72:73]
	v_cmp_eq_u32_e64 s[72:73], 7, v38
	;; [unrolled: 6-line block ×6, first 2 shown]
	v_cndmask_b32_e64 v39, v39, v26, s[88:89]
	s_nop 0
	v_cndmask_b32_e64 v39, v39, v7, s[90:91]
	v_and_b32_e32 v39, 0xff, v39
	ds_swizzle_b32 v39, v39 offset:swizzle(SWAP,2)
	s_waitcnt lgkmcnt(0)
	v_cndmask_b32_e64 v5, v5, v39, s[64:65]
	v_cmp_eq_u32_e64 s[64:65], 0, v38
	v_cndmask_b32_e64 v38, 4, 6, s[62:63]
	v_cndmask_b32_e32 v34, v34, v39, vcc
	v_cndmask_b32_e64 v6, v6, v39, s[64:65]
	v_cmp_eq_u32_e64 s[64:65], 1, v38
	v_cndmask_b32_e64 v7, v7, v39, s[90:91]
	v_cndmask_b32_e64 v26, v26, v39, s[88:89]
	;; [unrolled: 1-line block ×14, first 2 shown]
	v_cmp_eq_u32_e64 s[66:67], 2, v38
	v_cmp_eq_u32_e64 s[68:69], 3, v38
	;; [unrolled: 1-line block ×3, first 2 shown]
	v_cndmask_b32_e64 v39, v39, v5, s[66:67]
	v_cndmask_b32_e64 v39, v39, v4, s[68:69]
	v_cndmask_b32_e32 v39, v39, v37, vcc
	v_cndmask_b32_e64 v39, v39, v33, s[70:71]
	v_cndmask_b32_e64 v39, v39, v32, s[62:63]
	v_cmp_eq_u32_e64 s[72:73], 7, v38
	v_cmp_eq_u32_e64 s[74:75], 8, v38
	v_cmp_eq_u32_e64 s[76:77], 9, v38
	v_cndmask_b32_e64 v39, v39, v31, s[72:73]
	v_cndmask_b32_e64 v39, v39, v36, s[74:75]
	v_cndmask_b32_e64 v39, v39, v30, s[76:77]
	v_cmp_eq_u32_e64 s[80:81], 10, v38
	v_cmp_eq_u32_e64 s[82:83], 11, v38
	v_cmp_eq_u32_e64 s[84:85], 12, v38
	v_cndmask_b32_e64 v39, v39, v29, s[80:81]
	v_cndmask_b32_e64 v39, v39, v28, s[82:83]
	v_cndmask_b32_e64 v39, v39, v35, s[84:85]
	v_cmp_eq_u32_e64 s[86:87], 13, v38
	v_cmp_eq_u32_e64 s[88:89], 14, v38
	v_cmp_eq_u32_e64 s[90:91], 15, v38
	v_cndmask_b32_e64 v39, v39, v27, s[86:87]
	v_cndmask_b32_e64 v39, v39, v26, s[88:89]
	v_cndmask_b32_e64 v39, v39, v7, s[90:91]
	v_and_b32_e32 v39, 0xff, v39
	ds_swizzle_b32 v39, v39 offset:swizzle(SWAP,2)
	s_waitcnt lgkmcnt(0)
	v_cndmask_b32_e64 v34, v34, v39, s[64:65]
	v_cmp_eq_u32_e64 s[64:65], 0, v38
	v_cndmask_b32_e64 v38, 5, 7, s[62:63]
	v_cndmask_b32_e64 v7, v7, v39, s[90:91]
	;; [unrolled: 1-line block ×3, first 2 shown]
	v_cmp_eq_u32_e64 s[64:65], 1, v38
	v_cndmask_b32_e64 v26, v26, v39, s[88:89]
	v_cndmask_b32_e64 v27, v27, v39, s[86:87]
	;; [unrolled: 1-line block ×12, first 2 shown]
	v_cndmask_b32_e32 v37, v37, v39, vcc
	v_cndmask_b32_e64 v39, v6, v34, s[64:65]
	v_cmp_eq_u32_e64 s[66:67], 2, v38
	v_cmp_eq_u32_e64 s[68:69], 3, v38
	;; [unrolled: 1-line block ×3, first 2 shown]
	v_cndmask_b32_e64 v39, v39, v5, s[66:67]
	v_cndmask_b32_e64 v39, v39, v4, s[68:69]
	v_cndmask_b32_e64 v39, v39, v37, s[70:71]
	v_cndmask_b32_e32 v39, v39, v33, vcc
	v_cmp_eq_u32_e64 s[72:73], 6, v38
	v_cmp_eq_u32_e64 s[74:75], 8, v38
	;; [unrolled: 1-line block ×3, first 2 shown]
	v_cndmask_b32_e64 v39, v39, v32, s[72:73]
	v_cndmask_b32_e64 v39, v39, v31, s[62:63]
	;; [unrolled: 1-line block ×4, first 2 shown]
	v_cmp_eq_u32_e64 s[80:81], 10, v38
	v_cmp_eq_u32_e64 s[82:83], 11, v38
	;; [unrolled: 1-line block ×3, first 2 shown]
	v_cndmask_b32_e64 v39, v39, v29, s[80:81]
	v_cndmask_b32_e64 v39, v39, v28, s[82:83]
	;; [unrolled: 1-line block ×3, first 2 shown]
	v_cmp_eq_u32_e64 s[86:87], 13, v38
	v_cmp_eq_u32_e64 s[88:89], 14, v38
	;; [unrolled: 1-line block ×3, first 2 shown]
	v_cndmask_b32_e64 v39, v39, v27, s[86:87]
	v_cndmask_b32_e64 v39, v39, v26, s[88:89]
	;; [unrolled: 1-line block ×3, first 2 shown]
	v_and_b32_e32 v39, 0xff, v39
	ds_swizzle_b32 v39, v39 offset:swizzle(SWAP,2)
	s_waitcnt lgkmcnt(0)
	v_cndmask_b32_e64 v34, v34, v39, s[64:65]
	v_cmp_eq_u32_e64 s[64:65], 0, v38
	v_cndmask_b32_e64 v38, 8, 10, s[62:63]
	v_cndmask_b32_e64 v7, v7, v39, s[90:91]
	;; [unrolled: 1-line block ×3, first 2 shown]
	v_cmp_eq_u32_e64 s[64:65], 1, v38
	v_cndmask_b32_e64 v26, v26, v39, s[88:89]
	v_cndmask_b32_e64 v27, v27, v39, s[86:87]
	;; [unrolled: 1-line block ×12, first 2 shown]
	v_cndmask_b32_e32 v33, v33, v39, vcc
	v_cndmask_b32_e64 v39, v6, v34, s[64:65]
	v_cmp_eq_u32_e64 s[66:67], 2, v38
	v_cmp_eq_u32_e64 s[68:69], 3, v38
	;; [unrolled: 1-line block ×3, first 2 shown]
	v_cndmask_b32_e64 v39, v39, v5, s[66:67]
	v_cndmask_b32_e64 v39, v39, v4, s[68:69]
	;; [unrolled: 1-line block ×3, first 2 shown]
	v_cmp_eq_u32_e64 s[72:73], 5, v38
	v_cmp_eq_u32_e64 s[74:75], 6, v38
	;; [unrolled: 1-line block ×3, first 2 shown]
	v_cndmask_b32_e64 v39, v39, v33, s[72:73]
	v_cndmask_b32_e64 v39, v39, v32, s[74:75]
	;; [unrolled: 1-line block ×3, first 2 shown]
	v_cndmask_b32_e32 v39, v39, v36, vcc
	v_cmp_eq_u32_e64 s[80:81], 9, v38
	v_cmp_eq_u32_e64 s[82:83], 11, v38
	;; [unrolled: 1-line block ×3, first 2 shown]
	v_cndmask_b32_e64 v39, v39, v30, s[80:81]
	v_cndmask_b32_e64 v39, v39, v29, s[62:63]
	;; [unrolled: 1-line block ×4, first 2 shown]
	v_cmp_eq_u32_e64 s[86:87], 13, v38
	v_cmp_eq_u32_e64 s[88:89], 14, v38
	;; [unrolled: 1-line block ×3, first 2 shown]
	v_cndmask_b32_e64 v39, v39, v27, s[86:87]
	v_cndmask_b32_e64 v39, v39, v26, s[88:89]
	;; [unrolled: 1-line block ×3, first 2 shown]
	v_and_b32_e32 v39, 0xff, v39
	ds_swizzle_b32 v39, v39 offset:swizzle(SWAP,2)
	s_waitcnt lgkmcnt(0)
	v_cndmask_b32_e64 v34, v34, v39, s[64:65]
	v_cmp_eq_u32_e64 s[64:65], 0, v38
	v_cndmask_b32_e64 v38, 9, 11, s[62:63]
	v_cndmask_b32_e64 v7, v7, v39, s[90:91]
	;; [unrolled: 1-line block ×3, first 2 shown]
	v_cmp_eq_u32_e64 s[64:65], 1, v38
	v_cndmask_b32_e64 v26, v26, v39, s[88:89]
	v_cndmask_b32_e64 v27, v27, v39, s[86:87]
	;; [unrolled: 1-line block ×12, first 2 shown]
	v_cndmask_b32_e32 v36, v36, v39, vcc
	v_cndmask_b32_e64 v39, v6, v34, s[64:65]
	v_cmp_eq_u32_e64 s[66:67], 2, v38
	v_cmp_eq_u32_e64 s[68:69], 3, v38
	;; [unrolled: 1-line block ×3, first 2 shown]
	v_cndmask_b32_e64 v39, v39, v5, s[66:67]
	v_cndmask_b32_e64 v39, v39, v4, s[68:69]
	;; [unrolled: 1-line block ×3, first 2 shown]
	v_cmp_eq_u32_e64 s[72:73], 5, v38
	v_cmp_eq_u32_e64 s[74:75], 6, v38
	;; [unrolled: 1-line block ×3, first 2 shown]
	v_cndmask_b32_e64 v39, v39, v33, s[72:73]
	v_cndmask_b32_e64 v39, v39, v32, s[74:75]
	;; [unrolled: 1-line block ×3, first 2 shown]
	v_cmp_eq_u32_e64 s[80:81], 8, v38
	v_cmp_eq_u32_e64 s[82:83], 10, v38
	;; [unrolled: 1-line block ×3, first 2 shown]
	v_cndmask_b32_e64 v39, v39, v36, s[80:81]
	v_cndmask_b32_e32 v39, v39, v30, vcc
	v_cndmask_b32_e64 v39, v39, v29, s[82:83]
	v_cndmask_b32_e64 v39, v39, v28, s[62:63]
	;; [unrolled: 1-line block ×3, first 2 shown]
	v_cmp_eq_u32_e64 s[86:87], 13, v38
	v_cmp_eq_u32_e64 s[88:89], 14, v38
	;; [unrolled: 1-line block ×3, first 2 shown]
	v_cndmask_b32_e64 v39, v39, v27, s[86:87]
	v_cndmask_b32_e64 v39, v39, v26, s[88:89]
	v_cndmask_b32_e64 v39, v39, v7, s[90:91]
	v_and_b32_e32 v39, 0xff, v39
	ds_swizzle_b32 v39, v39 offset:swizzle(SWAP,2)
	s_waitcnt lgkmcnt(0)
	v_cndmask_b32_e64 v34, v34, v39, s[64:65]
	v_cmp_eq_u32_e64 s[64:65], 0, v38
	v_cndmask_b32_e64 v38, 12, 14, s[62:63]
	v_cndmask_b32_e64 v7, v7, v39, s[90:91]
	;; [unrolled: 1-line block ×3, first 2 shown]
	v_cmp_eq_u32_e64 s[64:65], 1, v38
	v_cndmask_b32_e64 v26, v26, v39, s[88:89]
	v_cndmask_b32_e64 v27, v27, v39, s[86:87]
	;; [unrolled: 1-line block ×12, first 2 shown]
	v_cndmask_b32_e32 v30, v30, v39, vcc
	v_cndmask_b32_e64 v39, v6, v34, s[64:65]
	v_cmp_eq_u32_e64 s[66:67], 2, v38
	v_cmp_eq_u32_e64 s[68:69], 3, v38
	v_cmp_eq_u32_e64 s[70:71], 4, v38
	v_cndmask_b32_e64 v39, v39, v5, s[66:67]
	v_cndmask_b32_e64 v39, v39, v4, s[68:69]
	v_cndmask_b32_e64 v39, v39, v37, s[70:71]
	v_cmp_eq_u32_e64 s[72:73], 5, v38
	v_cmp_eq_u32_e64 s[74:75], 6, v38
	v_cmp_eq_u32_e64 s[76:77], 7, v38
	v_cndmask_b32_e64 v39, v39, v33, s[72:73]
	v_cndmask_b32_e64 v39, v39, v32, s[74:75]
	v_cndmask_b32_e64 v39, v39, v31, s[76:77]
	v_cmp_eq_u32_e64 s[80:81], 8, v38
	v_cmp_eq_u32_e64 s[82:83], 9, v38
	v_cmp_eq_u32_e64 s[84:85], 10, v38
	v_cndmask_b32_e64 v39, v39, v36, s[80:81]
	v_cndmask_b32_e64 v39, v39, v30, s[82:83]
	v_cndmask_b32_e64 v39, v39, v29, s[84:85]
	v_cmp_eq_u32_e64 s[86:87], 11, v38
	v_cmp_eq_u32_e64 s[88:89], 13, v38
	;; [unrolled: 1-line block ×3, first 2 shown]
	v_cndmask_b32_e64 v39, v39, v28, s[86:87]
	v_cndmask_b32_e32 v39, v39, v35, vcc
	v_cndmask_b32_e64 v39, v39, v27, s[88:89]
	v_cndmask_b32_e64 v39, v39, v26, s[62:63]
	;; [unrolled: 1-line block ×3, first 2 shown]
	v_and_b32_e32 v39, 0xff, v39
	ds_swizzle_b32 v39, v39 offset:swizzle(SWAP,2)
	s_waitcnt lgkmcnt(0)
	v_cndmask_b32_e64 v34, v34, v39, s[64:65]
	v_cmp_eq_u32_e64 s[64:65], 0, v38
	v_cndmask_b32_e64 v38, 13, 15, s[62:63]
	v_cndmask_b32_e64 v7, v7, v39, s[90:91]
	;; [unrolled: 1-line block ×3, first 2 shown]
	v_cmp_eq_u32_e64 s[64:65], 1, v38
	v_cndmask_b32_e64 v27, v27, v39, s[88:89]
	v_cndmask_b32_e64 v28, v28, v39, s[86:87]
	;; [unrolled: 1-line block ×12, first 2 shown]
	v_cndmask_b32_e32 v35, v35, v39, vcc
	v_cndmask_b32_e64 v39, v6, v34, s[64:65]
	v_cmp_eq_u32_e64 s[66:67], 2, v38
	v_cmp_eq_u32_e64 s[68:69], 3, v38
	v_cmp_eq_u32_e64 s[70:71], 4, v38
	v_cndmask_b32_e64 v39, v39, v5, s[66:67]
	v_cndmask_b32_e64 v39, v39, v4, s[68:69]
	v_cndmask_b32_e64 v39, v39, v37, s[70:71]
	v_cmp_eq_u32_e64 s[72:73], 5, v38
	v_cmp_eq_u32_e64 s[74:75], 6, v38
	v_cmp_eq_u32_e64 s[76:77], 7, v38
	v_cndmask_b32_e64 v39, v39, v33, s[72:73]
	v_cndmask_b32_e64 v39, v39, v32, s[74:75]
	;; [unrolled: 6-line block ×4, first 2 shown]
	v_cndmask_b32_e32 v39, v39, v27, vcc
	v_cndmask_b32_e64 v39, v39, v26, s[90:91]
	v_cndmask_b32_e64 v39, v39, v7, s[62:63]
	v_and_b32_e32 v39, 0xff, v39
	ds_swizzle_b32 v39, v39 offset:swizzle(SWAP,2)
	s_waitcnt lgkmcnt(0)
	v_cndmask_b32_e32 v27, v27, v39, vcc
	v_cmp_eq_u32_e32 vcc, 0, v38
	v_and_b32_e32 v38, 1, v10
	v_cndmask_b32_e64 v7, v7, v39, s[62:63]
	v_cndmask_b32_e64 v26, v26, v39, s[90:91]
	v_cndmask_b32_e64 v35, v35, v39, s[88:89]
	v_cndmask_b32_e64 v28, v28, v39, s[86:87]
	v_cndmask_b32_e64 v29, v29, v39, s[84:85]
	v_cndmask_b32_e64 v30, v30, v39, s[82:83]
	v_cndmask_b32_e64 v36, v36, v39, s[80:81]
	v_cndmask_b32_e64 v31, v31, v39, s[76:77]
	v_cndmask_b32_e64 v32, v32, v39, s[74:75]
	v_cndmask_b32_e64 v33, v33, v39, s[72:73]
	v_cndmask_b32_e64 v37, v37, v39, s[70:71]
	v_cndmask_b32_e64 v4, v4, v39, s[68:69]
	v_cndmask_b32_e64 v5, v5, v39, s[66:67]
	v_cndmask_b32_e32 v6, v6, v39, vcc
	v_cndmask_b32_e64 v34, v34, v39, s[64:65]
	v_xor_b32_e32 v39, 1, v38
	v_cmp_eq_u32_e64 s[62:63], 1, v38
	v_cmp_eq_u32_e32 vcc, 2, v39
	v_cmp_eq_u32_e64 s[64:65], 3, v39
	v_cndmask_b32_e64 v40, v34, v6, s[62:63]
	v_cndmask_b32_e32 v40, v40, v5, vcc
	v_cndmask_b32_e64 v40, v40, v4, s[64:65]
	v_cmp_eq_u32_e64 s[66:67], 4, v39
	v_cmp_eq_u32_e64 s[68:69], 5, v39
	v_cmp_eq_u32_e64 s[70:71], 6, v39
	v_cndmask_b32_e64 v40, v40, v37, s[66:67]
	v_cndmask_b32_e64 v40, v40, v33, s[68:69]
	v_cndmask_b32_e64 v40, v40, v32, s[70:71]
	v_cmp_eq_u32_e64 s[72:73], 7, v39
	v_cmp_eq_u32_e64 s[74:75], 8, v39
	v_cmp_eq_u32_e64 s[76:77], 9, v39
	v_cndmask_b32_e64 v40, v40, v31, s[72:73]
	v_cndmask_b32_e64 v40, v40, v36, s[74:75]
	;; [unrolled: 6-line block ×4, first 2 shown]
	v_cndmask_b32_e64 v39, v40, v7, s[90:91]
	v_and_b32_e32 v39, 0xff, v39
	ds_swizzle_b32 v39, v39 offset:swizzle(SWAP,1)
	s_waitcnt lgkmcnt(0)
	v_cndmask_b32_e32 v5, v5, v39, vcc
	v_cmp_eq_u32_e32 vcc, 0, v38
	v_cndmask_b32_e64 v4, v4, v39, s[64:65]
	v_cndmask_b32_e64 v34, v39, v34, s[62:63]
	v_cndmask_b32_e64 v38, 2, 3, vcc
	v_cndmask_b32_e64 v6, v6, v39, s[62:63]
	v_cmp_eq_u32_e64 s[64:65], 1, v38
	v_cndmask_b32_e64 v7, v7, v39, s[90:91]
	v_cndmask_b32_e64 v26, v26, v39, s[88:89]
	v_cndmask_b32_e64 v27, v27, v39, s[86:87]
	v_cndmask_b32_e64 v35, v35, v39, s[84:85]
	v_cndmask_b32_e64 v28, v28, v39, s[82:83]
	v_cndmask_b32_e64 v29, v29, v39, s[80:81]
	v_cndmask_b32_e64 v30, v30, v39, s[76:77]
	v_cndmask_b32_e64 v36, v36, v39, s[74:75]
	v_cndmask_b32_e64 v31, v31, v39, s[72:73]
	v_cndmask_b32_e64 v32, v32, v39, s[70:71]
	v_cndmask_b32_e64 v33, v33, v39, s[68:69]
	v_cndmask_b32_e64 v37, v37, v39, s[66:67]
	v_cndmask_b32_e64 v39, v6, v34, s[64:65]
	v_cndmask_b32_e64 v39, v39, v5, s[62:63]
	v_cndmask_b32_e32 v39, v39, v4, vcc
	v_cmp_eq_u32_e64 s[66:67], 4, v38
	v_cmp_eq_u32_e64 s[68:69], 5, v38
	v_cmp_eq_u32_e64 s[70:71], 6, v38
	v_cndmask_b32_e64 v39, v39, v37, s[66:67]
	v_cndmask_b32_e64 v39, v39, v33, s[68:69]
	v_cndmask_b32_e64 v39, v39, v32, s[70:71]
	v_cmp_eq_u32_e64 s[72:73], 7, v38
	v_cmp_eq_u32_e64 s[74:75], 8, v38
	v_cmp_eq_u32_e64 s[76:77], 9, v38
	v_cndmask_b32_e64 v39, v39, v31, s[72:73]
	v_cndmask_b32_e64 v39, v39, v36, s[74:75]
	v_cndmask_b32_e64 v39, v39, v30, s[76:77]
	;; [unrolled: 6-line block ×4, first 2 shown]
	v_and_b32_e32 v39, 0xff, v39
	ds_swizzle_b32 v39, v39 offset:swizzle(SWAP,1)
	s_waitcnt lgkmcnt(0)
	v_cndmask_b32_e64 v34, v34, v39, s[64:65]
	v_cmp_eq_u32_e64 s[64:65], 0, v38
	v_cndmask_b32_e64 v38, 4, 5, vcc
	v_cndmask_b32_e64 v7, v7, v39, s[90:91]
	v_cndmask_b32_e64 v6, v6, v39, s[64:65]
	v_cmp_eq_u32_e64 s[64:65], 1, v38
	v_cndmask_b32_e64 v26, v26, v39, s[88:89]
	v_cndmask_b32_e64 v27, v27, v39, s[86:87]
	;; [unrolled: 1-line block ×11, first 2 shown]
	v_cndmask_b32_e32 v4, v4, v39, vcc
	v_cndmask_b32_e64 v5, v5, v39, s[62:63]
	v_cndmask_b32_e64 v39, v6, v34, s[64:65]
	v_cmp_eq_u32_e64 s[66:67], 2, v38
	v_cmp_eq_u32_e64 s[68:69], 3, v38
	;; [unrolled: 1-line block ×3, first 2 shown]
	v_cndmask_b32_e64 v39, v39, v5, s[66:67]
	v_cndmask_b32_e64 v39, v39, v4, s[68:69]
	;; [unrolled: 1-line block ×3, first 2 shown]
	v_cndmask_b32_e32 v39, v39, v33, vcc
	v_cndmask_b32_e64 v39, v39, v32, s[70:71]
	v_cmp_eq_u32_e64 s[72:73], 7, v38
	v_cmp_eq_u32_e64 s[74:75], 8, v38
	v_cmp_eq_u32_e64 s[76:77], 9, v38
	v_cndmask_b32_e64 v39, v39, v31, s[72:73]
	v_cndmask_b32_e64 v39, v39, v36, s[74:75]
	v_cndmask_b32_e64 v39, v39, v30, s[76:77]
	v_cmp_eq_u32_e64 s[80:81], 10, v38
	v_cmp_eq_u32_e64 s[82:83], 11, v38
	v_cmp_eq_u32_e64 s[84:85], 12, v38
	v_cndmask_b32_e64 v39, v39, v29, s[80:81]
	v_cndmask_b32_e64 v39, v39, v28, s[82:83]
	;; [unrolled: 6-line block ×3, first 2 shown]
	v_cndmask_b32_e64 v39, v39, v7, s[90:91]
	v_and_b32_e32 v39, 0xff, v39
	ds_swizzle_b32 v39, v39 offset:swizzle(SWAP,1)
	s_waitcnt lgkmcnt(0)
	v_cndmask_b32_e64 v34, v34, v39, s[64:65]
	v_cmp_eq_u32_e64 s[64:65], 0, v38
	v_cndmask_b32_e64 v38, 6, 7, vcc
	v_cndmask_b32_e64 v7, v7, v39, s[90:91]
	v_cndmask_b32_e64 v6, v6, v39, s[64:65]
	v_cmp_eq_u32_e64 s[64:65], 1, v38
	v_cndmask_b32_e64 v26, v26, v39, s[88:89]
	v_cndmask_b32_e64 v27, v27, v39, s[86:87]
	v_cndmask_b32_e64 v35, v35, v39, s[84:85]
	v_cndmask_b32_e64 v28, v28, v39, s[82:83]
	v_cndmask_b32_e64 v29, v29, v39, s[80:81]
	v_cndmask_b32_e64 v30, v30, v39, s[76:77]
	v_cndmask_b32_e64 v36, v36, v39, s[74:75]
	v_cndmask_b32_e64 v31, v31, v39, s[72:73]
	v_cndmask_b32_e64 v32, v32, v39, s[70:71]
	v_cndmask_b32_e64 v4, v4, v39, s[68:69]
	v_cndmask_b32_e64 v5, v5, v39, s[66:67]
	v_cndmask_b32_e32 v33, v33, v39, vcc
	v_cndmask_b32_e64 v37, v37, v39, s[62:63]
	v_cndmask_b32_e64 v39, v6, v34, s[64:65]
	v_cmp_eq_u32_e64 s[66:67], 2, v38
	v_cmp_eq_u32_e64 s[68:69], 3, v38
	;; [unrolled: 1-line block ×3, first 2 shown]
	v_cndmask_b32_e64 v39, v39, v5, s[66:67]
	v_cndmask_b32_e64 v39, v39, v4, s[68:69]
	;; [unrolled: 1-line block ×3, first 2 shown]
	v_cmp_eq_u32_e64 s[72:73], 5, v38
	v_cmp_eq_u32_e64 s[74:75], 8, v38
	v_cmp_eq_u32_e64 s[76:77], 9, v38
	v_cndmask_b32_e64 v39, v39, v33, s[72:73]
	v_cndmask_b32_e64 v39, v39, v32, s[62:63]
	v_cndmask_b32_e32 v39, v39, v31, vcc
	v_cndmask_b32_e64 v39, v39, v36, s[74:75]
	v_cndmask_b32_e64 v39, v39, v30, s[76:77]
	v_cmp_eq_u32_e64 s[80:81], 10, v38
	v_cmp_eq_u32_e64 s[82:83], 11, v38
	;; [unrolled: 1-line block ×3, first 2 shown]
	v_cndmask_b32_e64 v39, v39, v29, s[80:81]
	v_cndmask_b32_e64 v39, v39, v28, s[82:83]
	;; [unrolled: 1-line block ×3, first 2 shown]
	v_cmp_eq_u32_e64 s[86:87], 13, v38
	v_cmp_eq_u32_e64 s[88:89], 14, v38
	;; [unrolled: 1-line block ×3, first 2 shown]
	v_cndmask_b32_e64 v39, v39, v27, s[86:87]
	v_cndmask_b32_e64 v39, v39, v26, s[88:89]
	v_cndmask_b32_e64 v39, v39, v7, s[90:91]
	v_and_b32_e32 v39, 0xff, v39
	ds_swizzle_b32 v39, v39 offset:swizzle(SWAP,1)
	s_waitcnt lgkmcnt(0)
	v_cndmask_b32_e64 v34, v34, v39, s[64:65]
	v_cmp_eq_u32_e64 s[64:65], 0, v38
	v_cndmask_b32_e64 v38, 8, 9, vcc
	v_cndmask_b32_e64 v7, v7, v39, s[90:91]
	v_cndmask_b32_e64 v6, v6, v39, s[64:65]
	v_cmp_eq_u32_e64 s[64:65], 1, v38
	v_cndmask_b32_e64 v26, v26, v39, s[88:89]
	v_cndmask_b32_e64 v27, v27, v39, s[86:87]
	;; [unrolled: 1-line block ×11, first 2 shown]
	v_cndmask_b32_e32 v31, v31, v39, vcc
	v_cndmask_b32_e64 v32, v32, v39, s[62:63]
	v_cndmask_b32_e64 v39, v6, v34, s[64:65]
	v_cmp_eq_u32_e64 s[66:67], 2, v38
	v_cmp_eq_u32_e64 s[68:69], 3, v38
	;; [unrolled: 1-line block ×3, first 2 shown]
	v_cndmask_b32_e64 v39, v39, v5, s[66:67]
	v_cndmask_b32_e64 v39, v39, v4, s[68:69]
	;; [unrolled: 1-line block ×3, first 2 shown]
	v_cmp_eq_u32_e64 s[72:73], 5, v38
	v_cmp_eq_u32_e64 s[74:75], 6, v38
	;; [unrolled: 1-line block ×3, first 2 shown]
	v_cndmask_b32_e64 v39, v39, v33, s[72:73]
	v_cndmask_b32_e64 v39, v39, v32, s[74:75]
	;; [unrolled: 1-line block ×4, first 2 shown]
	v_cndmask_b32_e32 v39, v39, v30, vcc
	v_cmp_eq_u32_e64 s[80:81], 10, v38
	v_cmp_eq_u32_e64 s[82:83], 11, v38
	;; [unrolled: 1-line block ×3, first 2 shown]
	v_cndmask_b32_e64 v39, v39, v29, s[80:81]
	v_cndmask_b32_e64 v39, v39, v28, s[82:83]
	;; [unrolled: 1-line block ×3, first 2 shown]
	v_cmp_eq_u32_e64 s[86:87], 13, v38
	v_cmp_eq_u32_e64 s[88:89], 14, v38
	;; [unrolled: 1-line block ×3, first 2 shown]
	v_cndmask_b32_e64 v39, v39, v27, s[86:87]
	v_cndmask_b32_e64 v39, v39, v26, s[88:89]
	;; [unrolled: 1-line block ×3, first 2 shown]
	v_and_b32_e32 v39, 0xff, v39
	ds_swizzle_b32 v39, v39 offset:swizzle(SWAP,1)
	s_waitcnt lgkmcnt(0)
	v_cndmask_b32_e64 v34, v34, v39, s[64:65]
	v_cmp_eq_u32_e64 s[64:65], 0, v38
	v_cndmask_b32_e64 v38, 10, 11, vcc
	v_cndmask_b32_e64 v7, v7, v39, s[90:91]
	v_cndmask_b32_e64 v6, v6, v39, s[64:65]
	v_cmp_eq_u32_e64 s[64:65], 1, v38
	v_cndmask_b32_e64 v26, v26, v39, s[88:89]
	v_cndmask_b32_e64 v27, v27, v39, s[86:87]
	;; [unrolled: 1-line block ×11, first 2 shown]
	v_cndmask_b32_e32 v30, v30, v39, vcc
	v_cndmask_b32_e64 v36, v36, v39, s[62:63]
	v_cndmask_b32_e64 v39, v6, v34, s[64:65]
	v_cmp_eq_u32_e64 s[66:67], 2, v38
	v_cmp_eq_u32_e64 s[68:69], 3, v38
	v_cmp_eq_u32_e64 s[70:71], 4, v38
	v_cndmask_b32_e64 v39, v39, v5, s[66:67]
	v_cndmask_b32_e64 v39, v39, v4, s[68:69]
	v_cndmask_b32_e64 v39, v39, v37, s[70:71]
	v_cmp_eq_u32_e64 s[72:73], 5, v38
	v_cmp_eq_u32_e64 s[74:75], 6, v38
	v_cmp_eq_u32_e64 s[76:77], 7, v38
	v_cndmask_b32_e64 v39, v39, v33, s[72:73]
	;; [unrolled: 6-line block ×3, first 2 shown]
	v_cndmask_b32_e64 v39, v39, v30, s[82:83]
	v_cndmask_b32_e64 v39, v39, v29, s[62:63]
	v_cndmask_b32_e32 v39, v39, v28, vcc
	v_cndmask_b32_e64 v39, v39, v35, s[84:85]
	v_cmp_eq_u32_e64 s[86:87], 13, v38
	v_cmp_eq_u32_e64 s[88:89], 14, v38
	;; [unrolled: 1-line block ×3, first 2 shown]
	v_cndmask_b32_e64 v39, v39, v27, s[86:87]
	v_cndmask_b32_e64 v39, v39, v26, s[88:89]
	;; [unrolled: 1-line block ×3, first 2 shown]
	v_and_b32_e32 v39, 0xff, v39
	ds_swizzle_b32 v39, v39 offset:swizzle(SWAP,1)
	s_waitcnt lgkmcnt(0)
	v_cndmask_b32_e64 v34, v34, v39, s[64:65]
	v_cmp_eq_u32_e64 s[64:65], 0, v38
	v_cndmask_b32_e64 v38, 12, 13, vcc
	v_cndmask_b32_e64 v7, v7, v39, s[90:91]
	v_cndmask_b32_e64 v6, v6, v39, s[64:65]
	v_cmp_eq_u32_e64 s[64:65], 1, v38
	v_cndmask_b32_e64 v26, v26, v39, s[88:89]
	v_cndmask_b32_e64 v27, v27, v39, s[86:87]
	;; [unrolled: 1-line block ×11, first 2 shown]
	v_cndmask_b32_e32 v28, v28, v39, vcc
	v_cndmask_b32_e64 v29, v29, v39, s[62:63]
	v_cndmask_b32_e64 v39, v6, v34, s[64:65]
	v_cmp_eq_u32_e64 s[66:67], 2, v38
	v_cmp_eq_u32_e64 s[68:69], 3, v38
	v_cmp_eq_u32_e64 s[70:71], 4, v38
	v_cndmask_b32_e64 v39, v39, v5, s[66:67]
	v_cndmask_b32_e64 v39, v39, v4, s[68:69]
	v_cndmask_b32_e64 v39, v39, v37, s[70:71]
	v_cmp_eq_u32_e64 s[72:73], 5, v38
	v_cmp_eq_u32_e64 s[74:75], 6, v38
	v_cmp_eq_u32_e64 s[76:77], 7, v38
	v_cndmask_b32_e64 v39, v39, v33, s[72:73]
	;; [unrolled: 6-line block ×4, first 2 shown]
	v_cndmask_b32_e64 v39, v39, v35, s[62:63]
	v_cndmask_b32_e32 v39, v39, v27, vcc
	v_cndmask_b32_e64 v39, v39, v26, s[88:89]
	v_cndmask_b32_e64 v39, v39, v7, s[90:91]
	v_and_b32_e32 v39, 0xff, v39
	ds_swizzle_b32 v39, v39 offset:swizzle(SWAP,1)
	s_waitcnt lgkmcnt(0)
	v_cndmask_b32_e64 v34, v34, v39, s[64:65]
	v_cmp_eq_u32_e64 s[64:65], 0, v38
	v_cndmask_b32_e64 v38, 14, 15, vcc
	v_cndmask_b32_e64 v7, v7, v39, s[90:91]
	v_cndmask_b32_e64 v6, v6, v39, s[64:65]
	v_cmp_eq_u32_e64 s[64:65], 1, v38
	v_cndmask_b32_e64 v26, v26, v39, s[88:89]
	v_cndmask_b32_e64 v28, v28, v39, s[86:87]
	;; [unrolled: 1-line block ×11, first 2 shown]
	v_cndmask_b32_e32 v27, v27, v39, vcc
	v_cndmask_b32_e64 v35, v35, v39, s[62:63]
	v_cndmask_b32_e64 v39, v6, v34, s[64:65]
	v_cmp_eq_u32_e64 s[66:67], 2, v38
	v_cmp_eq_u32_e64 s[68:69], 3, v38
	v_cmp_eq_u32_e64 s[70:71], 4, v38
	v_cndmask_b32_e64 v39, v39, v5, s[66:67]
	v_cndmask_b32_e64 v39, v39, v4, s[68:69]
	v_cndmask_b32_e64 v39, v39, v37, s[70:71]
	v_cmp_eq_u32_e64 s[72:73], 5, v38
	v_cmp_eq_u32_e64 s[74:75], 6, v38
	v_cmp_eq_u32_e64 s[76:77], 7, v38
	v_cndmask_b32_e64 v39, v39, v33, s[72:73]
	;; [unrolled: 6-line block ×4, first 2 shown]
	v_cndmask_b32_e64 v39, v39, v35, s[88:89]
	v_cndmask_b32_e64 v39, v39, v27, s[90:91]
	;; [unrolled: 1-line block ×3, first 2 shown]
	v_cndmask_b32_e32 v39, v39, v7, vcc
	v_and_b32_e32 v39, 0xff, v39
	ds_swizzle_b32 v39, v39 offset:swizzle(SWAP,1)
	s_waitcnt lgkmcnt(0)
	v_cndmask_b32_e64 v27, v27, v39, s[90:91]
	v_cndmask_b32_e32 v7, v7, v39, vcc
	v_cmp_eq_u32_e32 vcc, 0, v38
	v_cndmask_b32_e64 v35, v35, v39, s[88:89]
	v_cndmask_b32_e64 v26, v26, v39, s[62:63]
	;; [unrolled: 1-line block ×11, first 2 shown]
	v_cndmask_b32_e32 v38, v6, v39, vcc
	v_cndmask_b32_e64 v4, v4, v39, s[68:69]
	v_cndmask_b32_e64 v39, v5, v39, s[66:67]
	v_lshlrev_b16_e32 v5, 8, v27
	v_lshlrev_b16_e32 v6, 8, v7
	v_or_b32_sdwa v5, v35, v5 dst_sel:DWORD dst_unused:UNUSED_PAD src0_sel:BYTE_0 src1_sel:DWORD
	v_or_b32_sdwa v6, v26, v6 dst_sel:WORD_1 dst_unused:UNUSED_PAD src0_sel:BYTE_0 src1_sel:DWORD
	v_lshlrev_b16_e32 v26, 8, v31
	v_or_b32_sdwa v7, v5, v6 dst_sel:DWORD dst_unused:UNUSED_PAD src0_sel:WORD_0 src1_sel:DWORD
	v_lshlrev_b16_e32 v5, 8, v30
	v_lshlrev_b16_e32 v6, 8, v28
	v_or_b32_sdwa v5, v36, v5 dst_sel:DWORD dst_unused:UNUSED_PAD src0_sel:BYTE_0 src1_sel:DWORD
	v_or_b32_sdwa v6, v29, v6 dst_sel:WORD_1 dst_unused:UNUSED_PAD src0_sel:BYTE_0 src1_sel:DWORD
	v_or_b32_sdwa v26, v32, v26 dst_sel:WORD_1 dst_unused:UNUSED_PAD src0_sel:BYTE_0 src1_sel:DWORD
	v_or_b32_sdwa v6, v5, v6 dst_sel:DWORD dst_unused:UNUSED_PAD src0_sel:WORD_0 src1_sel:DWORD
	v_lshlrev_b16_e32 v5, 8, v33
	v_or_b32_sdwa v5, v37, v5 dst_sel:DWORD dst_unused:UNUSED_PAD src0_sel:BYTE_0 src1_sel:DWORD
	v_or_b32_sdwa v5, v5, v26 dst_sel:DWORD dst_unused:UNUSED_PAD src0_sel:WORD_0 src1_sel:DWORD
	v_lshlrev_b16_e32 v26, 8, v34
	v_lshlrev_b16_e32 v4, 8, v4
	v_or_b32_sdwa v26, v38, v26 dst_sel:DWORD dst_unused:UNUSED_PAD src0_sel:BYTE_0 src1_sel:DWORD
	v_or_b32_sdwa v4, v39, v4 dst_sel:WORD_1 dst_unused:UNUSED_PAD src0_sel:BYTE_0 src1_sel:DWORD
	s_mov_b64 s[62:63], 0
	v_or_b32_sdwa v4, v26, v4 dst_sel:DWORD dst_unused:UNUSED_PAD src0_sel:WORD_0 src1_sel:DWORD
	s_branch .LBB11_3
.LBB11_2:
	s_mov_b64 s[62:63], -1
                                        ; implicit-def: $vgpr4_vgpr5_vgpr6_vgpr7
.LBB11_3:
	v_readlane_b32 s0, v41, 8
	s_andn2_b64 vcc, exec, s[62:63]
	v_readlane_b32 s1, v41, 9
	s_cbranch_vccnz .LBB11_5
; %bb.4:
	ds_swizzle_b32 v6, v25 offset:swizzle(SWAP,8)
	v_readlane_b32 s2, v41, 36
	v_readlane_b32 s3, v41, 37
	v_lshrrev_b64 v[4:5], 24, v[2:3]
	v_readlane_b32 s68, v43, 6
	s_waitcnt lgkmcnt(0)
	v_cndmask_b32_e64 v7, v24, v6, s[2:3]
	v_readlane_b32 s2, v41, 34
	v_readlane_b32 s3, v41, 35
	v_cndmask_b32_e64 v15, v15, v6, s[0:1]
	v_readlane_b32 s0, v41, 24
	v_cndmask_b32_e64 v23, v23, v6, s[2:3]
	v_readlane_b32 s2, v41, 32
	v_readlane_b32 s3, v41, 33
	;; [unrolled: 1-line block ×4, first 2 shown]
	v_cndmask_b32_e64 v22, v22, v6, s[2:3]
	v_readlane_b32 s2, v41, 30
	v_readlane_b32 s3, v41, 31
	v_cndmask_b32_e64 v3, v3, v6, s[0:1]
	v_readlane_b32 s0, v41, 18
	v_cndmask_b32_e64 v24, v4, v6, s[2:3]
	v_readlane_b32 s2, v41, 28
	v_readlane_b32 s3, v41, 29
	;; [unrolled: 1-line block ×3, first 2 shown]
	v_lshrrev_b64 v[4:5], 24, v[0:1]
	v_cndmask_b32_e64 v21, v21, v6, s[2:3]
	v_readlane_b32 s2, v41, 26
	v_readlane_b32 s3, v41, 27
	v_cndmask_b32_e64 v2, v2, v6, s[0:1]
	v_readlane_b32 s0, v41, 12
	v_cndmask_b32_e64 v20, v20, v6, s[2:3]
	v_readlane_b32 s2, v41, 22
	v_readlane_b32 s3, v41, 23
	v_readlane_b32 s1, v41, 13
	v_readlane_b32 s70, v43, 8
	v_cndmask_b32_e64 v19, v19, v6, s[2:3]
	v_readlane_b32 s2, v41, 20
	v_readlane_b32 s3, v41, 21
	v_cndmask_b32_e64 v1, v1, v6, s[0:1]
	v_readlane_b32 s0, v43, 4
	v_cndmask_b32_e64 v18, v18, v6, s[2:3]
	v_readlane_b32 s2, v41, 16
	v_readlane_b32 s3, v41, 17
	v_readlane_b32 s1, v43, 5
	v_readlane_b32 s71, v43, 9
	;; [unrolled: 10-line block ×3, first 2 shown]
	v_cndmask_b32_e64 v5, v16, v6, s[2:3]
	v_cndmask_b32_e64 v6, v0, v15, s[68:69]
	;; [unrolled: 1-line block ×4, first 2 shown]
	v_readlane_b32 s75, v43, 13
	v_readlane_b32 s76, v43, 14
	v_readlane_b32 s77, v43, 15
	v_cndmask_b32_e64 v6, v6, v1, s[74:75]
	v_readlane_b32 s80, v43, 16
	v_cndmask_b32_e64 v6, v6, v17, s[76:77]
	v_readlane_b32 s81, v43, 17
	v_readlane_b32 s0, v43, 18
	v_readlane_b32 s1, v43, 19
	v_cndmask_b32_e64 v6, v6, v18, s[80:81]
	v_readlane_b32 s10, v43, 20
	v_cndmask_b32_e64 v6, v6, v19, s[0:1]
	;; [unrolled: 6-line block ×6, first 2 shown]
	v_and_b32_e32 v6, 0xff, v6
	ds_swizzle_b32 v6, v6 offset:swizzle(SWAP,8)
	v_readlane_b32 s17, v43, 37
	v_readlane_b32 s14, v42, 14
	;; [unrolled: 1-line block ×4, first 2 shown]
	s_waitcnt lgkmcnt(0)
	v_cndmask_b32_e64 v19, v19, v6, s[0:1]
	v_readlane_b32 s0, v43, 34
	v_readlane_b32 s1, v43, 35
	v_cndmask_b32_e64 v15, v15, v6, s[68:69]
	v_cndmask_b32_e64 v7, v7, v6, s[8:9]
	;; [unrolled: 1-line block ×3, first 2 shown]
	v_readlane_b32 s0, v43, 38
	v_cndmask_b32_e64 v16, v23, v6, s[6:7]
	v_cndmask_b32_e64 v22, v22, v6, s[4:5]
	;; [unrolled: 1-line block ×13, first 2 shown]
	v_readlane_b32 s1, v43, 39
	v_readlane_b32 s30, v43, 40
	v_readlane_b32 s31, v43, 41
	v_cndmask_b32_e64 v6, v6, v5, s[0:1]
	v_readlane_b32 s34, v43, 42
	v_cndmask_b32_e64 v6, v6, v4, s[30:31]
	v_readlane_b32 s35, v43, 43
	v_readlane_b32 s36, v43, 44
	v_readlane_b32 s37, v43, 45
	v_cndmask_b32_e64 v6, v6, v1, s[34:35]
	v_readlane_b32 s2, v43, 46
	v_cndmask_b32_e64 v6, v6, v17, s[36:37]
	;; [unrolled: 6-line block ×5, first 2 shown]
	v_cndmask_b32_e64 v6, v6, v3, s[14:15]
	v_readlane_b32 s20, v41, 4
	v_cndmask_b32_e64 v6, v6, v22, s[18:19]
	v_readlane_b32 s21, v41, 5
	v_readlane_b32 s22, v41, 6
	;; [unrolled: 1-line block ×3, first 2 shown]
	v_cndmask_b32_e64 v6, v6, v16, s[20:21]
	v_readlane_b32 s24, v42, 58
	v_cndmask_b32_e64 v6, v6, v7, s[22:23]
	v_and_b32_e32 v6, 0xff, v6
	ds_swizzle_b32 v6, v6 offset:swizzle(SWAP,8)
	v_readlane_b32 s25, v42, 59
	v_readlane_b32 s26, v42, 60
	;; [unrolled: 1-line block ×4, first 2 shown]
	s_waitcnt lgkmcnt(0)
	v_cndmask_b32_e64 v5, v5, v6, s[0:1]
	v_readlane_b32 s0, v41, 0
	v_cndmask_b32_e64 v18, v18, v6, s[2:3]
	v_readlane_b32 s1, v41, 1
	v_readlane_b32 s2, v42, 22
	v_cndmask_b32_e64 v19, v19, v6, s[4:5]
	v_cndmask_b32_e64 v15, v15, v6, s[16:17]
	;; [unrolled: 1-line block ×3, first 2 shown]
	v_readlane_b32 s3, v42, 23
	v_readlane_b32 s4, v42, 26
	v_cndmask_b32_e64 v7, v7, v6, s[22:23]
	v_cndmask_b32_e64 v16, v16, v6, s[20:21]
	;; [unrolled: 1-line block ×12, first 2 shown]
	v_readlane_b32 s5, v42, 27
	v_readlane_b32 s6, v42, 30
	v_readlane_b32 s7, v42, 31
	v_cndmask_b32_e64 v6, v6, v5, s[4:5]
	v_readlane_b32 s8, v42, 34
	v_cndmask_b32_e64 v6, v6, v4, s[6:7]
	v_readlane_b32 s9, v42, 35
	v_readlane_b32 s10, v42, 38
	v_readlane_b32 s11, v42, 39
	v_cndmask_b32_e64 v6, v6, v1, s[8:9]
	v_readlane_b32 s0, v42, 42
	v_cndmask_b32_e64 v6, v6, v17, s[10:11]
	;; [unrolled: 6-line block ×5, first 2 shown]
	v_readlane_b32 s23, v42, 57
	v_readlane_b32 s29, v42, 63
	v_cmp_eq_u32_e32 vcc, 1, v14
	v_cndmask_b32_e64 v6, v6, v3, s[22:23]
	v_cndmask_b32_e64 v6, v6, v22, s[24:25]
	;; [unrolled: 1-line block ×4, first 2 shown]
	v_and_b32_e32 v6, 0xff, v6
	ds_swizzle_b32 v6, v6 offset:swizzle(SWAP,8)
	s_waitcnt lgkmcnt(0)
	v_cndmask_b32_e64 v18, v18, v6, s[0:1]
	v_readlane_b32 s0, v43, 56
	v_cndmask_b32_e64 v15, v15, v6, s[2:3]
	v_readlane_b32 s1, v43, 57
	v_readlane_b32 s2, v43, 58
	v_cndmask_b32_e64 v5, v5, v6, s[4:5]
	v_cndmask_b32_e64 v0, v0, v6, s[0:1]
	v_readlane_b32 s3, v43, 59
	v_readlane_b32 s4, v43, 60
	v_cndmask_b32_e64 v7, v7, v6, s[28:29]
	v_cndmask_b32_e64 v16, v16, v6, s[26:27]
	;; [unrolled: 1-line block ×13, first 2 shown]
	v_readlane_b32 s5, v43, 61
	v_readlane_b32 s6, v43, 62
	v_readlane_b32 s7, v43, 63
	v_cndmask_b32_e64 v6, v6, v5, s[4:5]
	v_readlane_b32 s8, v42, 4
	v_cndmask_b32_e64 v6, v6, v4, s[6:7]
	v_readlane_b32 s9, v42, 5
	v_readlane_b32 s10, v42, 8
	v_readlane_b32 s11, v42, 9
	v_cndmask_b32_e64 v6, v6, v1, s[8:9]
	v_readlane_b32 s12, v42, 12
	v_cndmask_b32_e64 v6, v6, v17, s[10:11]
	v_readlane_b32 s13, v42, 13
	v_readlane_b32 s14, v42, 16
	v_readlane_b32 s15, v42, 17
	v_cndmask_b32_e64 v6, v6, v18, s[12:13]
	v_readlane_b32 s16, v42, 18
	v_cndmask_b32_e64 v6, v6, v19, s[14:15]
	v_readlane_b32 s17, v42, 19
	v_readlane_b32 s18, v42, 20
	v_readlane_b32 s19, v42, 21
	v_cndmask_b32_e64 v6, v6, v2, s[16:17]
	v_readlane_b32 s20, v42, 24
	v_cndmask_b32_e64 v6, v6, v20, s[18:19]
	v_readlane_b32 s21, v42, 25
	v_readlane_b32 s22, v42, 28
	v_readlane_b32 s23, v42, 29
	v_cndmask_b32_e64 v6, v6, v21, s[20:21]
	v_readlane_b32 s24, v42, 32
	v_cndmask_b32_e64 v6, v6, v23, s[22:23]
	v_readlane_b32 s25, v42, 33
	v_readlane_b32 s26, v42, 36
	v_readlane_b32 s27, v42, 37
	v_cndmask_b32_e64 v6, v6, v3, s[24:25]
	v_readlane_b32 s28, v42, 40
	v_cndmask_b32_e64 v6, v6, v22, s[26:27]
	v_readlane_b32 s29, v42, 41
	v_readlane_b32 s0, v42, 46
	;; [unrolled: 1-line block ×3, first 2 shown]
	v_cndmask_b32_e64 v6, v6, v16, s[28:29]
	s_nop 0
	v_cndmask_b32_e64 v6, v6, v7, s[0:1]
	v_and_b32_e32 v6, 0xff, v6
	ds_swizzle_b32 v6, v6 offset:swizzle(SWAP,8)
	s_waitcnt lgkmcnt(0)
	v_cndmask_b32_e64 v15, v15, v6, s[2:3]
	v_readlane_b32 s2, v42, 0
	v_readlane_b32 s3, v42, 1
	v_cndmask_b32_e64 v7, v7, v6, s[0:1]
	v_cndmask_b32_e64 v16, v16, v6, s[28:29]
	;; [unrolled: 1-line block ×15, first 2 shown]
	v_cndmask_b32_e32 v6, v0, v15, vcc
	v_cmp_eq_u32_e64 s[2:3], 2, v14
	v_cmp_eq_u32_e64 s[4:5], 3, v14
	v_cmp_eq_u32_e64 s[6:7], 4, v14
	v_cndmask_b32_e64 v6, v6, v5, s[2:3]
	v_cndmask_b32_e64 v6, v6, v4, s[4:5]
	v_cndmask_b32_e64 v6, v6, v1, s[6:7]
	v_cmp_eq_u32_e64 s[8:9], 5, v14
	v_cmp_eq_u32_e64 s[10:11], 6, v14
	v_cmp_eq_u32_e64 s[12:13], 7, v14
	v_cndmask_b32_e64 v6, v6, v17, s[8:9]
	v_cndmask_b32_e64 v6, v6, v18, s[10:11]
	v_cndmask_b32_e64 v6, v6, v19, s[12:13]
	;; [unrolled: 6-line block ×4, first 2 shown]
	v_cmp_eq_u32_e64 s[26:27], 14, v14
	v_cmp_eq_u32_e64 s[28:29], 15, v14
	v_readlane_b32 s0, v42, 44
	v_cndmask_b32_e64 v6, v6, v16, s[26:27]
	v_cndmask_b32_e64 v6, v6, v7, s[28:29]
	v_and_b32_e32 v6, 0xff, v6
	ds_swizzle_b32 v6, v6 offset:swizzle(SWAP,8)
	v_readlane_b32 s1, v42, 45
	s_waitcnt lgkmcnt(0)
	v_cndmask_b32_e32 v15, v15, v6, vcc
	v_cmp_eq_u32_e32 vcc, 0, v14
	v_cndmask_b32_e64 v7, v7, v6, s[28:29]
	v_cndmask_b32_e64 v16, v16, v6, s[26:27]
	v_cndmask_b32_e32 v0, v0, v6, vcc
	v_cmp_eq_u32_e32 vcc, 1, v13
	v_cndmask_b32_e64 v22, v22, v6, s[24:25]
	v_cndmask_b32_e64 v3, v3, v6, s[22:23]
	;; [unrolled: 1-line block ×12, first 2 shown]
	v_cndmask_b32_e32 v6, v0, v15, vcc
	v_cmp_eq_u32_e64 s[2:3], 2, v13
	v_cmp_eq_u32_e64 s[4:5], 3, v13
	v_cmp_eq_u32_e64 s[6:7], 4, v13
	v_cndmask_b32_e64 v6, v6, v5, s[2:3]
	v_cndmask_b32_e64 v6, v6, v4, s[4:5]
	v_cndmask_b32_e64 v6, v6, v1, s[6:7]
	v_cmp_eq_u32_e64 s[8:9], 5, v13
	v_cmp_eq_u32_e64 s[10:11], 6, v13
	v_cmp_eq_u32_e64 s[12:13], 7, v13
	v_cndmask_b32_e64 v6, v6, v17, s[8:9]
	v_cndmask_b32_e64 v6, v6, v18, s[10:11]
	v_cndmask_b32_e64 v6, v6, v19, s[12:13]
	;; [unrolled: 6-line block ×4, first 2 shown]
	v_cmp_eq_u32_e64 s[26:27], 14, v13
	v_cmp_eq_u32_e64 s[28:29], 15, v13
	s_nop 0
	v_cndmask_b32_e64 v6, v6, v16, s[26:27]
	v_cndmask_b32_e64 v6, v6, v7, s[28:29]
	v_and_b32_e32 v6, 0xff, v6
	ds_swizzle_b32 v6, v6 offset:swizzle(SWAP,8)
	s_waitcnt lgkmcnt(0)
	v_cndmask_b32_e32 v15, v15, v6, vcc
	v_cmp_eq_u32_e32 vcc, 0, v13
	v_cndmask_b32_e64 v7, v7, v6, s[28:29]
	v_cndmask_b32_e64 v14, v16, v6, s[26:27]
	v_cndmask_b32_e32 v0, v0, v6, vcc
	v_cmp_eq_u32_e32 vcc, 1, v12
	v_cndmask_b32_e64 v16, v22, v6, s[24:25]
	v_cndmask_b32_e64 v3, v3, v6, s[22:23]
	;; [unrolled: 1-line block ×12, first 2 shown]
	v_cndmask_b32_e32 v6, v0, v15, vcc
	v_cmp_eq_u32_e64 s[2:3], 2, v12
	v_cmp_eq_u32_e64 s[4:5], 3, v12
	v_cmp_eq_u32_e64 s[6:7], 4, v12
	v_cndmask_b32_e64 v6, v6, v5, s[2:3]
	v_cndmask_b32_e64 v6, v6, v4, s[4:5]
	v_cndmask_b32_e64 v6, v6, v1, s[6:7]
	v_cmp_eq_u32_e64 s[8:9], 5, v12
	v_cmp_eq_u32_e64 s[10:11], 6, v12
	v_cmp_eq_u32_e64 s[12:13], 7, v12
	v_cndmask_b32_e64 v6, v6, v17, s[8:9]
	v_cndmask_b32_e64 v6, v6, v18, s[10:11]
	v_cndmask_b32_e64 v6, v6, v19, s[12:13]
	v_cmp_eq_u32_e64 s[14:15], 8, v12
	v_cmp_eq_u32_e64 s[16:17], 9, v12
	v_cmp_eq_u32_e64 s[18:19], 10, v12
	v_cndmask_b32_e64 v6, v6, v2, s[14:15]
	v_cndmask_b32_e64 v6, v6, v20, s[16:17]
	v_cndmask_b32_e64 v6, v6, v21, s[18:19]
	v_cmp_eq_u32_e64 s[20:21], 11, v12
	v_cmp_eq_u32_e64 s[22:23], 12, v12
	v_cmp_eq_u32_e64 s[24:25], 13, v12
	v_cndmask_b32_e64 v6, v6, v22, s[20:21]
	v_cndmask_b32_e64 v6, v6, v3, s[22:23]
	v_cndmask_b32_e64 v6, v6, v16, s[24:25]
	v_cmp_eq_u32_e64 s[26:27], 14, v12
	v_cmp_eq_u32_e64 s[28:29], 15, v12
	s_nop 0
	v_cndmask_b32_e64 v6, v6, v14, s[26:27]
	v_cndmask_b32_e64 v6, v6, v7, s[28:29]
	v_and_b32_e32 v6, 0xff, v6
	ds_swizzle_b32 v6, v6 offset:swizzle(SWAP,8)
	s_waitcnt lgkmcnt(0)
	v_cndmask_b32_e32 v15, v15, v6, vcc
	v_cmp_eq_u32_e32 vcc, 0, v12
	v_cndmask_b32_e64 v7, v7, v6, s[28:29]
	v_cndmask_b32_e64 v13, v14, v6, s[26:27]
	;; [unrolled: 1-line block ×14, first 2 shown]
	v_cndmask_b32_e32 v0, v0, v6, vcc
	v_xor_b32_e32 v6, 4, v11
	v_cmp_eq_u32_e32 vcc, 1, v6
	v_cmp_eq_u32_e64 s[2:3], 2, v6
	v_cmp_eq_u32_e64 s[4:5], 3, v6
	v_cndmask_b32_e32 v12, v0, v15, vcc
	v_cndmask_b32_e64 v12, v12, v5, s[2:3]
	v_cndmask_b32_e64 v12, v12, v4, s[4:5]
	v_cmp_eq_u32_e64 s[6:7], 4, v6
	v_cmp_eq_u32_e64 s[8:9], 5, v6
	v_cmp_eq_u32_e64 s[10:11], 6, v6
	v_cndmask_b32_e64 v12, v12, v1, s[6:7]
	v_cndmask_b32_e64 v12, v12, v17, s[8:9]
	v_cndmask_b32_e64 v12, v12, v18, s[10:11]
	v_cmp_eq_u32_e64 s[12:13], 7, v6
	v_cmp_eq_u32_e64 s[14:15], 8, v6
	v_cmp_eq_u32_e64 s[16:17], 9, v6
	v_cndmask_b32_e64 v12, v12, v19, s[12:13]
	;; [unrolled: 6-line block ×4, first 2 shown]
	v_cndmask_b32_e64 v12, v12, v13, s[26:27]
	v_cndmask_b32_e64 v12, v12, v7, s[28:29]
	v_and_b32_e32 v12, 0xff, v12
	ds_swizzle_b32 v12, v12 offset:swizzle(SWAP,4)
	s_waitcnt lgkmcnt(0)
	v_cndmask_b32_e32 v15, v15, v12, vcc
	v_cmp_eq_u32_e32 vcc, 0, v6
	v_cndmask_b32_e64 v5, v5, v12, s[2:3]
	v_cndmask_b32_e64 v4, v4, v12, s[4:5]
	v_cndmask_b32_e32 v0, v0, v12, vcc
	v_cmp_eq_u32_e32 vcc, 0, v11
	v_cndmask_b32_e64 v6, v0, v15, s[0:1]
	v_cndmask_b32_e64 v1, v1, v12, s[6:7]
	v_cndmask_b32_e64 v11, 1, 5, vcc
	v_cmp_eq_u32_e64 s[2:3], 2, v11
	v_cmp_eq_u32_e64 s[4:5], 3, v11
	;; [unrolled: 1-line block ×3, first 2 shown]
	v_cndmask_b32_e64 v6, v6, v5, s[2:3]
	v_cndmask_b32_e64 v6, v6, v4, s[4:5]
	;; [unrolled: 1-line block ×5, first 2 shown]
	v_cndmask_b32_e32 v6, v6, v17, vcc
	v_cmp_eq_u32_e64 s[8:9], 6, v11
	v_cndmask_b32_e64 v19, v19, v12, s[12:13]
	v_cmp_eq_u32_e64 s[10:11], 7, v11
	v_cndmask_b32_e64 v6, v6, v18, s[8:9]
	v_cndmask_b32_e64 v2, v2, v12, s[14:15]
	v_cndmask_b32_e64 v6, v6, v19, s[10:11]
	v_cmp_eq_u32_e64 s[12:13], 8, v11
	v_cndmask_b32_e64 v20, v20, v12, s[16:17]
	v_cmp_eq_u32_e64 s[14:15], 9, v11
	v_cndmask_b32_e64 v6, v6, v2, s[12:13]
	v_cndmask_b32_e64 v21, v21, v12, s[18:19]
	v_cndmask_b32_e64 v6, v6, v20, s[14:15]
	;; [unrolled: 6-line block ×4, first 2 shown]
	v_cmp_eq_u32_e64 s[24:25], 14, v11
	v_cndmask_b32_e64 v7, v7, v12, s[28:29]
	v_cmp_eq_u32_e64 s[26:27], 15, v11
	v_cndmask_b32_e64 v6, v6, v13, s[24:25]
	s_nop 0
	v_cndmask_b32_e64 v6, v6, v7, s[26:27]
	v_and_b32_e32 v6, 0xff, v6
	ds_swizzle_b32 v6, v6 offset:swizzle(SWAP,4)
	s_waitcnt lgkmcnt(0)
	v_cndmask_b32_e64 v5, v5, v6, s[2:3]
	v_cmp_eq_u32_e64 s[2:3], 0, v11
	v_cndmask_b32_e64 v7, v7, v6, s[26:27]
	v_cndmask_b32_e64 v12, v13, v6, s[24:25]
	;; [unrolled: 1-line block ×10, first 2 shown]
	v_cndmask_b32_e32 v17, v17, v6, vcc
	v_cndmask_b32_e64 v1, v1, v6, s[6:7]
	v_cndmask_b32_e64 v4, v4, v6, s[4:5]
	;; [unrolled: 1-line block ×4, first 2 shown]
	v_cndmask_b32_e64 v6, 2, 6, vcc
	v_cmp_eq_u32_e64 s[2:3], 1, v6
	v_cmp_eq_u32_e64 s[4:5], 3, v6
	;; [unrolled: 1-line block ×3, first 2 shown]
	v_cndmask_b32_e64 v11, v0, v15, s[2:3]
	v_cndmask_b32_e64 v11, v11, v5, s[0:1]
	;; [unrolled: 1-line block ×4, first 2 shown]
	v_cmp_eq_u32_e64 s[8:9], 5, v6
	v_cmp_eq_u32_e64 s[10:11], 7, v6
	;; [unrolled: 1-line block ×3, first 2 shown]
	v_cndmask_b32_e64 v11, v11, v17, s[8:9]
	v_cndmask_b32_e32 v11, v11, v18, vcc
	v_cndmask_b32_e64 v11, v11, v19, s[10:11]
	v_cndmask_b32_e64 v11, v11, v2, s[12:13]
	v_cmp_eq_u32_e64 s[14:15], 9, v6
	v_cmp_eq_u32_e64 s[16:17], 10, v6
	;; [unrolled: 1-line block ×3, first 2 shown]
	v_cndmask_b32_e64 v11, v11, v20, s[14:15]
	v_cndmask_b32_e64 v11, v11, v16, s[16:17]
	;; [unrolled: 1-line block ×3, first 2 shown]
	v_cmp_eq_u32_e64 s[20:21], 12, v6
	v_cmp_eq_u32_e64 s[22:23], 13, v6
	;; [unrolled: 1-line block ×3, first 2 shown]
	v_cndmask_b32_e64 v11, v11, v3, s[20:21]
	v_cndmask_b32_e64 v11, v11, v13, s[22:23]
	;; [unrolled: 1-line block ×3, first 2 shown]
	v_cmp_eq_u32_e64 s[26:27], 15, v6
	s_nop 1
	v_cndmask_b32_e64 v11, v11, v7, s[26:27]
	v_and_b32_e32 v11, 0xff, v11
	ds_swizzle_b32 v11, v11 offset:swizzle(SWAP,4)
	s_waitcnt lgkmcnt(0)
	v_cndmask_b32_e64 v15, v15, v11, s[2:3]
	v_cmp_eq_u32_e64 s[2:3], 0, v6
	v_cndmask_b32_e64 v6, 3, 7, vcc
	v_cndmask_b32_e64 v7, v7, v11, s[26:27]
	v_cndmask_b32_e64 v0, v0, v11, s[2:3]
	v_cmp_eq_u32_e64 s[2:3], 1, v6
	v_cndmask_b32_e64 v12, v12, v11, s[24:25]
	v_cndmask_b32_e64 v13, v13, v11, s[22:23]
	v_cndmask_b32_e64 v3, v3, v11, s[20:21]
	v_cndmask_b32_e64 v14, v14, v11, s[18:19]
	v_cndmask_b32_e64 v16, v16, v11, s[16:17]
	v_cndmask_b32_e64 v20, v20, v11, s[14:15]
	v_cndmask_b32_e64 v2, v2, v11, s[12:13]
	v_cndmask_b32_e64 v19, v19, v11, s[10:11]
	v_cndmask_b32_e32 v18, v18, v11, vcc
	v_cndmask_b32_e64 v17, v17, v11, s[8:9]
	v_cndmask_b32_e64 v1, v1, v11, s[6:7]
	;; [unrolled: 1-line block ×5, first 2 shown]
	v_cmp_eq_u32_e64 s[4:5], 2, v6
	v_cmp_eq_u32_e64 s[6:7], 4, v6
	;; [unrolled: 1-line block ×3, first 2 shown]
	v_cndmask_b32_e64 v11, v11, v5, s[4:5]
	v_cndmask_b32_e64 v11, v11, v4, s[0:1]
	;; [unrolled: 1-line block ×4, first 2 shown]
	v_cmp_eq_u32_e64 s[10:11], 6, v6
	v_cmp_eq_u32_e64 s[12:13], 8, v6
	;; [unrolled: 1-line block ×3, first 2 shown]
	v_cndmask_b32_e64 v11, v11, v18, s[10:11]
	v_cndmask_b32_e32 v11, v11, v19, vcc
	v_cndmask_b32_e64 v11, v11, v2, s[12:13]
	v_cndmask_b32_e64 v11, v11, v20, s[14:15]
	v_cmp_eq_u32_e64 s[16:17], 10, v6
	v_cmp_eq_u32_e64 s[18:19], 11, v6
	;; [unrolled: 1-line block ×3, first 2 shown]
	v_cndmask_b32_e64 v11, v11, v16, s[16:17]
	v_cndmask_b32_e64 v11, v11, v14, s[18:19]
	;; [unrolled: 1-line block ×3, first 2 shown]
	v_cmp_eq_u32_e64 s[22:23], 13, v6
	v_cmp_eq_u32_e64 s[24:25], 14, v6
	;; [unrolled: 1-line block ×3, first 2 shown]
	v_cndmask_b32_e64 v11, v11, v13, s[22:23]
	v_cndmask_b32_e64 v11, v11, v12, s[24:25]
	;; [unrolled: 1-line block ×3, first 2 shown]
	v_and_b32_e32 v11, 0xff, v11
	ds_swizzle_b32 v11, v11 offset:swizzle(SWAP,4)
	s_waitcnt lgkmcnt(0)
	v_cndmask_b32_e64 v15, v15, v11, s[2:3]
	v_cmp_eq_u32_e64 s[2:3], 0, v6
	v_cndmask_b32_e64 v6, 8, 12, vcc
	v_cndmask_b32_e64 v7, v7, v11, s[26:27]
	v_cndmask_b32_e64 v0, v0, v11, s[2:3]
	v_cmp_eq_u32_e64 s[2:3], 1, v6
	v_cndmask_b32_e64 v12, v12, v11, s[24:25]
	v_cndmask_b32_e64 v13, v13, v11, s[22:23]
	;; [unrolled: 1-line block ×7, first 2 shown]
	v_cndmask_b32_e32 v19, v19, v11, vcc
	v_cndmask_b32_e64 v18, v18, v11, s[10:11]
	v_cndmask_b32_e64 v17, v17, v11, s[8:9]
	;; [unrolled: 1-line block ×6, first 2 shown]
	v_cmp_eq_u32_e64 s[4:5], 2, v6
	v_cmp_eq_u32_e64 s[6:7], 3, v6
	;; [unrolled: 1-line block ×3, first 2 shown]
	v_cndmask_b32_e64 v11, v11, v5, s[4:5]
	v_cndmask_b32_e64 v11, v11, v4, s[6:7]
	;; [unrolled: 1-line block ×3, first 2 shown]
	v_cmp_eq_u32_e64 s[10:11], 5, v6
	v_cmp_eq_u32_e64 s[12:13], 6, v6
	;; [unrolled: 1-line block ×3, first 2 shown]
	v_cndmask_b32_e64 v11, v11, v17, s[10:11]
	v_cndmask_b32_e64 v11, v11, v18, s[12:13]
	;; [unrolled: 1-line block ×4, first 2 shown]
	v_cmp_eq_u32_e64 s[16:17], 9, v6
	v_cmp_eq_u32_e64 s[18:19], 10, v6
	;; [unrolled: 1-line block ×3, first 2 shown]
	v_cndmask_b32_e64 v11, v11, v20, s[16:17]
	v_cndmask_b32_e64 v11, v11, v16, s[18:19]
	;; [unrolled: 1-line block ×3, first 2 shown]
	v_cndmask_b32_e32 v11, v11, v3, vcc
	v_cmp_eq_u32_e64 s[22:23], 13, v6
	v_cmp_eq_u32_e64 s[24:25], 14, v6
	;; [unrolled: 1-line block ×3, first 2 shown]
	v_cndmask_b32_e64 v11, v11, v13, s[22:23]
	v_cndmask_b32_e64 v11, v11, v12, s[24:25]
	v_cndmask_b32_e64 v11, v11, v7, s[26:27]
	v_and_b32_e32 v11, 0xff, v11
	ds_swizzle_b32 v11, v11 offset:swizzle(SWAP,4)
	s_waitcnt lgkmcnt(0)
	v_cndmask_b32_e64 v15, v15, v11, s[2:3]
	v_cmp_eq_u32_e64 s[2:3], 0, v6
	v_cndmask_b32_e64 v6, 9, 13, vcc
	v_cndmask_b32_e64 v7, v7, v11, s[26:27]
	v_cndmask_b32_e64 v0, v0, v11, s[2:3]
	v_cmp_eq_u32_e64 s[2:3], 1, v6
	v_cndmask_b32_e64 v12, v12, v11, s[24:25]
	v_cndmask_b32_e64 v13, v13, v11, s[22:23]
	v_cndmask_b32_e32 v3, v3, v11, vcc
	v_cndmask_b32_e64 v14, v14, v11, s[20:21]
	v_cndmask_b32_e64 v16, v16, v11, s[18:19]
	;; [unrolled: 1-line block ×11, first 2 shown]
	v_cmp_eq_u32_e64 s[4:5], 2, v6
	v_cmp_eq_u32_e64 s[6:7], 3, v6
	v_cmp_eq_u32_e64 s[8:9], 4, v6
	v_cndmask_b32_e64 v11, v11, v5, s[4:5]
	v_cndmask_b32_e64 v11, v11, v4, s[6:7]
	v_cndmask_b32_e64 v11, v11, v1, s[8:9]
	v_cmp_eq_u32_e64 s[10:11], 5, v6
	v_cmp_eq_u32_e64 s[12:13], 6, v6
	v_cmp_eq_u32_e64 s[14:15], 7, v6
	v_cndmask_b32_e64 v11, v11, v17, s[10:11]
	v_cndmask_b32_e64 v11, v11, v18, s[12:13]
	v_cndmask_b32_e64 v11, v11, v19, s[14:15]
	;; [unrolled: 6-line block ×3, first 2 shown]
	v_cndmask_b32_e64 v11, v11, v14, s[20:21]
	v_cmp_eq_u32_e64 s[22:23], 12, v6
	v_cmp_eq_u32_e64 s[24:25], 14, v6
	;; [unrolled: 1-line block ×3, first 2 shown]
	v_cndmask_b32_e64 v11, v11, v3, s[22:23]
	v_cndmask_b32_e32 v11, v11, v13, vcc
	v_cndmask_b32_e64 v11, v11, v12, s[24:25]
	v_cndmask_b32_e64 v11, v11, v7, s[26:27]
	v_and_b32_e32 v11, 0xff, v11
	ds_swizzle_b32 v11, v11 offset:swizzle(SWAP,4)
	s_waitcnt lgkmcnt(0)
	v_cndmask_b32_e64 v15, v15, v11, s[2:3]
	v_cmp_eq_u32_e64 s[2:3], 0, v6
	v_cndmask_b32_e64 v6, 10, 14, vcc
	v_cndmask_b32_e64 v7, v7, v11, s[26:27]
	v_cndmask_b32_e64 v0, v0, v11, s[2:3]
	v_cmp_eq_u32_e64 s[2:3], 1, v6
	v_cndmask_b32_e64 v12, v12, v11, s[24:25]
	v_cndmask_b32_e32 v13, v13, v11, vcc
	v_cndmask_b32_e64 v3, v3, v11, s[22:23]
	v_cndmask_b32_e64 v14, v14, v11, s[20:21]
	v_cndmask_b32_e64 v16, v16, v11, s[18:19]
	v_cndmask_b32_e64 v20, v20, v11, s[0:1]
	v_cndmask_b32_e64 v2, v2, v11, s[16:17]
	v_cndmask_b32_e64 v19, v19, v11, s[14:15]
	v_cndmask_b32_e64 v18, v18, v11, s[12:13]
	v_cndmask_b32_e64 v17, v17, v11, s[10:11]
	v_cndmask_b32_e64 v1, v1, v11, s[8:9]
	v_cndmask_b32_e64 v4, v4, v11, s[6:7]
	v_cndmask_b32_e64 v5, v5, v11, s[4:5]
	v_cndmask_b32_e64 v11, v0, v15, s[2:3]
	v_cmp_eq_u32_e64 s[4:5], 2, v6
	v_cmp_eq_u32_e64 s[6:7], 3, v6
	v_cmp_eq_u32_e64 s[8:9], 4, v6
	v_cndmask_b32_e64 v11, v11, v5, s[4:5]
	v_cndmask_b32_e64 v11, v11, v4, s[6:7]
	v_cndmask_b32_e64 v11, v11, v1, s[8:9]
	v_cmp_eq_u32_e64 s[10:11], 5, v6
	v_cmp_eq_u32_e64 s[12:13], 6, v6
	v_cmp_eq_u32_e64 s[14:15], 7, v6
	v_cndmask_b32_e64 v11, v11, v17, s[10:11]
	v_cndmask_b32_e64 v11, v11, v18, s[12:13]
	v_cndmask_b32_e64 v11, v11, v19, s[14:15]
	;; [unrolled: 6-line block ×3, first 2 shown]
	v_cndmask_b32_e64 v11, v11, v14, s[20:21]
	v_cmp_eq_u32_e64 s[22:23], 12, v6
	v_cmp_eq_u32_e64 s[24:25], 13, v6
	;; [unrolled: 1-line block ×3, first 2 shown]
	v_cndmask_b32_e64 v11, v11, v3, s[22:23]
	v_cndmask_b32_e64 v11, v11, v13, s[24:25]
	v_cndmask_b32_e32 v11, v11, v12, vcc
	v_cndmask_b32_e64 v11, v11, v7, s[26:27]
	v_and_b32_e32 v11, 0xff, v11
	ds_swizzle_b32 v11, v11 offset:swizzle(SWAP,4)
	s_waitcnt lgkmcnt(0)
	v_cndmask_b32_e64 v15, v15, v11, s[2:3]
	v_cmp_eq_u32_e64 s[2:3], 0, v6
	v_cndmask_b32_e64 v6, 11, 15, vcc
	v_cndmask_b32_e64 v7, v7, v11, s[26:27]
	v_cndmask_b32_e64 v0, v0, v11, s[2:3]
	v_cmp_eq_u32_e64 s[2:3], 1, v6
	v_cndmask_b32_e32 v12, v12, v11, vcc
	v_cndmask_b32_e64 v13, v13, v11, s[24:25]
	v_cndmask_b32_e64 v3, v3, v11, s[22:23]
	;; [unrolled: 1-line block ×13, first 2 shown]
	v_cmp_eq_u32_e64 s[4:5], 2, v6
	v_cmp_eq_u32_e64 s[6:7], 3, v6
	v_cmp_eq_u32_e64 s[8:9], 4, v6
	v_cndmask_b32_e64 v11, v11, v5, s[4:5]
	v_cndmask_b32_e64 v11, v11, v4, s[6:7]
	v_cndmask_b32_e64 v11, v11, v1, s[8:9]
	v_cmp_eq_u32_e64 s[10:11], 5, v6
	v_cmp_eq_u32_e64 s[12:13], 6, v6
	v_cmp_eq_u32_e64 s[14:15], 7, v6
	v_cndmask_b32_e64 v11, v11, v17, s[10:11]
	v_cndmask_b32_e64 v11, v11, v18, s[12:13]
	v_cndmask_b32_e64 v11, v11, v19, s[14:15]
	;; [unrolled: 6-line block ×3, first 2 shown]
	v_cndmask_b32_e64 v11, v11, v14, s[0:1]
	v_cmp_eq_u32_e64 s[22:23], 12, v6
	v_cmp_eq_u32_e64 s[24:25], 13, v6
	;; [unrolled: 1-line block ×3, first 2 shown]
	v_cndmask_b32_e64 v11, v11, v3, s[22:23]
	v_cndmask_b32_e64 v11, v11, v13, s[24:25]
	;; [unrolled: 1-line block ×3, first 2 shown]
	v_cndmask_b32_e32 v11, v11, v7, vcc
	v_and_b32_e32 v11, 0xff, v11
	ds_swizzle_b32 v11, v11 offset:swizzle(SWAP,4)
	s_waitcnt lgkmcnt(0)
	v_cndmask_b32_e32 v7, v7, v11, vcc
	v_cmp_eq_u32_e32 vcc, 0, v6
	v_and_b32_e32 v6, 2, v10
	v_cndmask_b32_e64 v12, v12, v11, s[26:27]
	v_cndmask_b32_e64 v13, v13, v11, s[24:25]
	;; [unrolled: 1-line block ×14, first 2 shown]
	v_cndmask_b32_e32 v0, v0, v11, vcc
	v_xor_b32_e32 v11, 2, v6
	v_cmp_eq_u32_e32 vcc, 1, v11
	v_cmp_eq_u32_e64 s[0:1], 2, v11
	v_cmp_eq_u32_e64 s[2:3], 3, v11
	v_cndmask_b32_e32 v21, v0, v15, vcc
	v_cndmask_b32_e64 v21, v21, v5, s[0:1]
	v_cndmask_b32_e64 v21, v21, v4, s[2:3]
	v_cmp_eq_u32_e64 s[4:5], 4, v11
	v_cmp_eq_u32_e64 s[6:7], 5, v11
	v_cmp_eq_u32_e64 s[8:9], 6, v11
	v_cndmask_b32_e64 v21, v21, v1, s[4:5]
	v_cndmask_b32_e64 v21, v21, v17, s[6:7]
	v_cndmask_b32_e64 v21, v21, v18, s[8:9]
	v_cmp_eq_u32_e64 s[10:11], 7, v11
	v_cmp_eq_u32_e64 s[12:13], 8, v11
	v_cmp_eq_u32_e64 s[14:15], 9, v11
	v_cndmask_b32_e64 v21, v21, v19, s[10:11]
	;; [unrolled: 6-line block ×4, first 2 shown]
	v_cndmask_b32_e64 v21, v21, v12, s[24:25]
	v_cndmask_b32_e64 v21, v21, v7, s[26:27]
	v_and_b32_e32 v21, 0xff, v21
	ds_swizzle_b32 v21, v21 offset:swizzle(SWAP,2)
	v_and_b32_e32 v10, 1, v10
	s_waitcnt lgkmcnt(0)
	v_cndmask_b32_e64 v5, v5, v21, s[0:1]
	v_cndmask_b32_e32 v15, v15, v21, vcc
	v_cmp_eq_u32_e32 vcc, 0, v11
	v_cmp_eq_u32_e64 s[0:1], 0, v6
	v_cndmask_b32_e64 v4, v4, v21, s[2:3]
	v_cndmask_b32_e32 v0, v0, v21, vcc
	v_cmp_ne_u32_e32 vcc, 0, v6
	v_cndmask_b32_e64 v6, 1, 3, s[0:1]
	v_cmp_eq_u32_e64 s[2:3], 2, v6
	v_cndmask_b32_e32 v11, v0, v15, vcc
	v_cndmask_b32_e64 v1, v1, v21, s[4:5]
	v_cndmask_b32_e64 v11, v11, v5, s[2:3]
	v_cndmask_b32_e64 v11, v11, v4, s[0:1]
	v_cmp_eq_u32_e64 s[4:5], 4, v6
	v_cndmask_b32_e64 v17, v17, v21, s[6:7]
	v_cmp_eq_u32_e64 s[6:7], 5, v6
	v_cndmask_b32_e64 v11, v11, v1, s[4:5]
	v_cndmask_b32_e64 v18, v18, v21, s[8:9]
	v_cndmask_b32_e64 v11, v11, v17, s[6:7]
	v_cmp_eq_u32_e64 s[8:9], 6, v6
	v_cndmask_b32_e64 v19, v19, v21, s[10:11]
	v_cmp_eq_u32_e64 s[10:11], 7, v6
	;; [unrolled: 6-line block ×6, first 2 shown]
	v_cndmask_b32_e64 v11, v11, v12, s[24:25]
	s_nop 0
	v_cndmask_b32_e64 v11, v11, v7, s[26:27]
	v_and_b32_e32 v11, 0xff, v11
	ds_swizzle_b32 v11, v11 offset:swizzle(SWAP,2)
	s_waitcnt lgkmcnt(0)
	v_cndmask_b32_e64 v5, v5, v11, s[2:3]
	v_cmp_eq_u32_e64 s[2:3], 0, v6
	v_cndmask_b32_e64 v6, 4, 6, s[0:1]
	v_cndmask_b32_e32 v15, v15, v11, vcc
	v_cndmask_b32_e64 v0, v0, v11, s[2:3]
	v_cmp_eq_u32_e64 s[2:3], 1, v6
	v_cndmask_b32_e64 v7, v7, v11, s[26:27]
	v_cndmask_b32_e64 v12, v12, v11, s[24:25]
	;; [unrolled: 1-line block ×14, first 2 shown]
	v_cmp_eq_u32_e64 s[4:5], 2, v6
	v_cmp_eq_u32_e64 s[6:7], 3, v6
	v_cmp_eq_u32_e64 s[8:9], 5, v6
	v_cndmask_b32_e64 v11, v11, v5, s[4:5]
	v_cndmask_b32_e64 v11, v11, v4, s[6:7]
	v_cndmask_b32_e32 v11, v11, v1, vcc
	v_cndmask_b32_e64 v11, v11, v17, s[8:9]
	v_cndmask_b32_e64 v11, v11, v18, s[0:1]
	v_cmp_eq_u32_e64 s[10:11], 7, v6
	v_cmp_eq_u32_e64 s[12:13], 8, v6
	v_cmp_eq_u32_e64 s[14:15], 9, v6
	v_cndmask_b32_e64 v11, v11, v19, s[10:11]
	v_cndmask_b32_e64 v11, v11, v2, s[12:13]
	v_cndmask_b32_e64 v11, v11, v20, s[14:15]
	v_cmp_eq_u32_e64 s[16:17], 10, v6
	v_cmp_eq_u32_e64 s[18:19], 11, v6
	v_cmp_eq_u32_e64 s[20:21], 12, v6
	v_cndmask_b32_e64 v11, v11, v16, s[16:17]
	;; [unrolled: 6-line block ×3, first 2 shown]
	v_cndmask_b32_e64 v11, v11, v12, s[24:25]
	v_cndmask_b32_e64 v11, v11, v7, s[26:27]
	v_and_b32_e32 v11, 0xff, v11
	ds_swizzle_b32 v11, v11 offset:swizzle(SWAP,2)
	s_waitcnt lgkmcnt(0)
	v_cndmask_b32_e64 v15, v15, v11, s[2:3]
	v_cmp_eq_u32_e64 s[2:3], 0, v6
	v_cndmask_b32_e64 v6, 5, 7, s[0:1]
	v_cndmask_b32_e64 v7, v7, v11, s[26:27]
	;; [unrolled: 1-line block ×3, first 2 shown]
	v_cmp_eq_u32_e64 s[2:3], 1, v6
	v_cndmask_b32_e64 v12, v12, v11, s[24:25]
	v_cndmask_b32_e64 v13, v13, v11, s[22:23]
	;; [unrolled: 1-line block ×10, first 2 shown]
	v_cndmask_b32_e32 v1, v1, v11, vcc
	v_cndmask_b32_e64 v4, v4, v11, s[6:7]
	v_cndmask_b32_e64 v5, v5, v11, s[4:5]
	;; [unrolled: 1-line block ×3, first 2 shown]
	v_cmp_eq_u32_e64 s[4:5], 2, v6
	v_cmp_eq_u32_e64 s[6:7], 3, v6
	;; [unrolled: 1-line block ×3, first 2 shown]
	v_cndmask_b32_e64 v11, v11, v5, s[4:5]
	v_cndmask_b32_e64 v11, v11, v4, s[6:7]
	;; [unrolled: 1-line block ×3, first 2 shown]
	v_cndmask_b32_e32 v11, v11, v17, vcc
	v_cmp_eq_u32_e64 s[10:11], 6, v6
	v_cmp_eq_u32_e64 s[12:13], 8, v6
	;; [unrolled: 1-line block ×3, first 2 shown]
	v_cndmask_b32_e64 v11, v11, v18, s[10:11]
	v_cndmask_b32_e64 v11, v11, v19, s[0:1]
	;; [unrolled: 1-line block ×4, first 2 shown]
	v_cmp_eq_u32_e64 s[16:17], 10, v6
	v_cmp_eq_u32_e64 s[18:19], 11, v6
	;; [unrolled: 1-line block ×3, first 2 shown]
	v_cndmask_b32_e64 v11, v11, v16, s[16:17]
	v_cndmask_b32_e64 v11, v11, v14, s[18:19]
	;; [unrolled: 1-line block ×3, first 2 shown]
	v_cmp_eq_u32_e64 s[22:23], 13, v6
	v_cmp_eq_u32_e64 s[24:25], 14, v6
	;; [unrolled: 1-line block ×3, first 2 shown]
	v_cndmask_b32_e64 v11, v11, v13, s[22:23]
	v_cndmask_b32_e64 v11, v11, v12, s[24:25]
	;; [unrolled: 1-line block ×3, first 2 shown]
	v_and_b32_e32 v11, 0xff, v11
	ds_swizzle_b32 v11, v11 offset:swizzle(SWAP,2)
	s_waitcnt lgkmcnt(0)
	v_cndmask_b32_e64 v15, v15, v11, s[2:3]
	v_cmp_eq_u32_e64 s[2:3], 0, v6
	v_cndmask_b32_e64 v6, 8, 10, s[0:1]
	v_cndmask_b32_e64 v7, v7, v11, s[26:27]
	;; [unrolled: 1-line block ×3, first 2 shown]
	v_cmp_eq_u32_e64 s[2:3], 1, v6
	v_cndmask_b32_e64 v12, v12, v11, s[24:25]
	v_cndmask_b32_e64 v13, v13, v11, s[22:23]
	;; [unrolled: 1-line block ×9, first 2 shown]
	v_cndmask_b32_e32 v17, v17, v11, vcc
	v_cndmask_b32_e64 v1, v1, v11, s[8:9]
	v_cndmask_b32_e64 v4, v4, v11, s[6:7]
	;; [unrolled: 1-line block ×4, first 2 shown]
	v_cmp_eq_u32_e64 s[4:5], 2, v6
	v_cmp_eq_u32_e64 s[6:7], 3, v6
	;; [unrolled: 1-line block ×3, first 2 shown]
	v_cndmask_b32_e64 v11, v11, v5, s[4:5]
	v_cndmask_b32_e64 v11, v11, v4, s[6:7]
	;; [unrolled: 1-line block ×3, first 2 shown]
	v_cmp_eq_u32_e64 s[10:11], 5, v6
	v_cmp_eq_u32_e64 s[12:13], 6, v6
	;; [unrolled: 1-line block ×3, first 2 shown]
	v_cndmask_b32_e64 v11, v11, v17, s[10:11]
	v_cndmask_b32_e64 v11, v11, v18, s[12:13]
	;; [unrolled: 1-line block ×3, first 2 shown]
	v_cndmask_b32_e32 v11, v11, v2, vcc
	v_cmp_eq_u32_e64 s[16:17], 9, v6
	v_cmp_eq_u32_e64 s[18:19], 11, v6
	;; [unrolled: 1-line block ×3, first 2 shown]
	v_cndmask_b32_e64 v11, v11, v20, s[16:17]
	v_cndmask_b32_e64 v11, v11, v16, s[0:1]
	;; [unrolled: 1-line block ×4, first 2 shown]
	v_cmp_eq_u32_e64 s[22:23], 13, v6
	v_cmp_eq_u32_e64 s[24:25], 14, v6
	;; [unrolled: 1-line block ×3, first 2 shown]
	v_cndmask_b32_e64 v11, v11, v13, s[22:23]
	v_cndmask_b32_e64 v11, v11, v12, s[24:25]
	;; [unrolled: 1-line block ×3, first 2 shown]
	v_and_b32_e32 v11, 0xff, v11
	ds_swizzle_b32 v11, v11 offset:swizzle(SWAP,2)
	s_waitcnt lgkmcnt(0)
	v_cndmask_b32_e64 v15, v15, v11, s[2:3]
	v_cmp_eq_u32_e64 s[2:3], 0, v6
	v_cndmask_b32_e64 v6, 9, 11, s[0:1]
	v_cndmask_b32_e64 v7, v7, v11, s[26:27]
	;; [unrolled: 1-line block ×3, first 2 shown]
	v_cmp_eq_u32_e64 s[2:3], 1, v6
	v_cndmask_b32_e64 v12, v12, v11, s[24:25]
	v_cndmask_b32_e64 v13, v13, v11, s[22:23]
	;; [unrolled: 1-line block ×6, first 2 shown]
	v_cndmask_b32_e32 v2, v2, v11, vcc
	v_cndmask_b32_e64 v19, v19, v11, s[14:15]
	v_cndmask_b32_e64 v18, v18, v11, s[12:13]
	v_cndmask_b32_e64 v17, v17, v11, s[10:11]
	v_cndmask_b32_e64 v1, v1, v11, s[8:9]
	v_cndmask_b32_e64 v4, v4, v11, s[6:7]
	v_cndmask_b32_e64 v5, v5, v11, s[4:5]
	v_cndmask_b32_e64 v11, v0, v15, s[2:3]
	v_cmp_eq_u32_e64 s[4:5], 2, v6
	v_cmp_eq_u32_e64 s[6:7], 3, v6
	;; [unrolled: 1-line block ×3, first 2 shown]
	v_cndmask_b32_e64 v11, v11, v5, s[4:5]
	v_cndmask_b32_e64 v11, v11, v4, s[6:7]
	;; [unrolled: 1-line block ×3, first 2 shown]
	v_cmp_eq_u32_e64 s[10:11], 5, v6
	v_cmp_eq_u32_e64 s[12:13], 6, v6
	;; [unrolled: 1-line block ×3, first 2 shown]
	v_cndmask_b32_e64 v11, v11, v17, s[10:11]
	v_cndmask_b32_e64 v11, v11, v18, s[12:13]
	;; [unrolled: 1-line block ×3, first 2 shown]
	v_cmp_eq_u32_e64 s[16:17], 8, v6
	v_cmp_eq_u32_e64 s[18:19], 10, v6
	;; [unrolled: 1-line block ×3, first 2 shown]
	v_cndmask_b32_e64 v11, v11, v2, s[16:17]
	v_cndmask_b32_e32 v11, v11, v20, vcc
	v_cndmask_b32_e64 v11, v11, v16, s[18:19]
	v_cndmask_b32_e64 v11, v11, v14, s[0:1]
	;; [unrolled: 1-line block ×3, first 2 shown]
	v_cmp_eq_u32_e64 s[22:23], 13, v6
	v_cmp_eq_u32_e64 s[24:25], 14, v6
	;; [unrolled: 1-line block ×3, first 2 shown]
	v_cndmask_b32_e64 v11, v11, v13, s[22:23]
	v_cndmask_b32_e64 v11, v11, v12, s[24:25]
	;; [unrolled: 1-line block ×3, first 2 shown]
	v_and_b32_e32 v11, 0xff, v11
	ds_swizzle_b32 v11, v11 offset:swizzle(SWAP,2)
	s_waitcnt lgkmcnt(0)
	v_cndmask_b32_e64 v15, v15, v11, s[2:3]
	v_cmp_eq_u32_e64 s[2:3], 0, v6
	v_cndmask_b32_e64 v6, 12, 14, s[0:1]
	v_cndmask_b32_e64 v7, v7, v11, s[26:27]
	;; [unrolled: 1-line block ×3, first 2 shown]
	v_cmp_eq_u32_e64 s[2:3], 1, v6
	v_cndmask_b32_e64 v12, v12, v11, s[24:25]
	v_cndmask_b32_e64 v13, v13, v11, s[22:23]
	v_cndmask_b32_e64 v3, v3, v11, s[20:21]
	v_cndmask_b32_e64 v14, v14, v11, s[0:1]
	v_cndmask_b32_e64 v16, v16, v11, s[18:19]
	v_cndmask_b32_e32 v20, v20, v11, vcc
	v_cndmask_b32_e64 v2, v2, v11, s[16:17]
	v_cndmask_b32_e64 v19, v19, v11, s[14:15]
	;; [unrolled: 1-line block ×8, first 2 shown]
	v_cmp_eq_u32_e64 s[4:5], 2, v6
	v_cmp_eq_u32_e64 s[6:7], 3, v6
	v_cmp_eq_u32_e64 s[8:9], 4, v6
	v_cndmask_b32_e64 v11, v11, v5, s[4:5]
	v_cndmask_b32_e64 v11, v11, v4, s[6:7]
	v_cndmask_b32_e64 v11, v11, v1, s[8:9]
	v_cmp_eq_u32_e64 s[10:11], 5, v6
	v_cmp_eq_u32_e64 s[12:13], 6, v6
	v_cmp_eq_u32_e64 s[14:15], 7, v6
	v_cndmask_b32_e64 v11, v11, v17, s[10:11]
	v_cndmask_b32_e64 v11, v11, v18, s[12:13]
	v_cndmask_b32_e64 v11, v11, v19, s[14:15]
	;; [unrolled: 6-line block ×3, first 2 shown]
	v_cmp_eq_u32_e64 s[22:23], 11, v6
	v_cmp_eq_u32_e64 s[24:25], 13, v6
	v_cmp_eq_u32_e64 s[26:27], 15, v6
	v_cndmask_b32_e64 v11, v11, v14, s[22:23]
	v_cndmask_b32_e32 v11, v11, v3, vcc
	v_cndmask_b32_e64 v11, v11, v13, s[24:25]
	v_cndmask_b32_e64 v11, v11, v12, s[0:1]
	;; [unrolled: 1-line block ×3, first 2 shown]
	v_and_b32_e32 v11, 0xff, v11
	ds_swizzle_b32 v11, v11 offset:swizzle(SWAP,2)
	s_waitcnt lgkmcnt(0)
	v_cndmask_b32_e64 v15, v15, v11, s[2:3]
	v_cmp_eq_u32_e64 s[2:3], 0, v6
	v_cndmask_b32_e64 v6, 13, 15, s[0:1]
	v_cndmask_b32_e64 v7, v7, v11, s[26:27]
	;; [unrolled: 1-line block ×3, first 2 shown]
	v_cmp_eq_u32_e64 s[2:3], 1, v6
	v_cndmask_b32_e64 v12, v12, v11, s[0:1]
	v_cndmask_b32_e64 v13, v13, v11, s[24:25]
	v_cndmask_b32_e32 v3, v3, v11, vcc
	v_cndmask_b32_e64 v14, v14, v11, s[22:23]
	v_cndmask_b32_e64 v16, v16, v11, s[20:21]
	;; [unrolled: 1-line block ×11, first 2 shown]
	v_cmp_eq_u32_e64 s[4:5], 2, v6
	v_cmp_eq_u32_e64 s[6:7], 3, v6
	v_cmp_eq_u32_e64 s[8:9], 4, v6
	v_cndmask_b32_e64 v11, v11, v5, s[4:5]
	v_cndmask_b32_e64 v11, v11, v4, s[6:7]
	v_cndmask_b32_e64 v11, v11, v1, s[8:9]
	v_cmp_eq_u32_e64 s[10:11], 5, v6
	v_cmp_eq_u32_e64 s[12:13], 6, v6
	v_cmp_eq_u32_e64 s[14:15], 7, v6
	v_cndmask_b32_e64 v11, v11, v17, s[10:11]
	v_cndmask_b32_e64 v11, v11, v18, s[12:13]
	v_cndmask_b32_e64 v11, v11, v19, s[14:15]
	;; [unrolled: 6-line block ×3, first 2 shown]
	v_cmp_eq_u32_e64 s[22:23], 11, v6
	v_cmp_eq_u32_e64 s[24:25], 12, v6
	v_cmp_eq_u32_e64 s[26:27], 14, v6
	v_cndmask_b32_e64 v11, v11, v14, s[22:23]
	v_cndmask_b32_e64 v11, v11, v3, s[24:25]
	v_cndmask_b32_e32 v11, v11, v13, vcc
	v_cndmask_b32_e64 v11, v11, v12, s[26:27]
	v_cndmask_b32_e64 v11, v11, v7, s[0:1]
	v_and_b32_e32 v11, 0xff, v11
	ds_swizzle_b32 v11, v11 offset:swizzle(SWAP,2)
	s_waitcnt lgkmcnt(0)
	v_cndmask_b32_e32 v13, v13, v11, vcc
	v_cmp_eq_u32_e32 vcc, 0, v6
	v_cndmask_b32_e64 v7, v7, v11, s[0:1]
	v_cndmask_b32_e64 v12, v12, v11, s[26:27]
	;; [unrolled: 1-line block ×13, first 2 shown]
	v_cndmask_b32_e32 v0, v0, v11, vcc
	v_cndmask_b32_e64 v6, v15, v11, s[2:3]
	v_xor_b32_e32 v11, 1, v10
	v_cmp_eq_u32_e32 vcc, 1, v10
	v_cmp_eq_u32_e64 s[0:1], 2, v11
	v_cmp_eq_u32_e64 s[2:3], 3, v11
	v_cndmask_b32_e32 v15, v6, v0, vcc
	v_cndmask_b32_e64 v15, v15, v5, s[0:1]
	v_cndmask_b32_e64 v15, v15, v4, s[2:3]
	v_cmp_eq_u32_e64 s[4:5], 4, v11
	v_cmp_eq_u32_e64 s[6:7], 5, v11
	v_cmp_eq_u32_e64 s[8:9], 6, v11
	v_cndmask_b32_e64 v15, v15, v1, s[4:5]
	v_cndmask_b32_e64 v15, v15, v17, s[6:7]
	v_cndmask_b32_e64 v15, v15, v18, s[8:9]
	v_cmp_eq_u32_e64 s[10:11], 7, v11
	v_cmp_eq_u32_e64 s[12:13], 8, v11
	v_cmp_eq_u32_e64 s[14:15], 9, v11
	v_cndmask_b32_e64 v15, v15, v19, s[10:11]
	;; [unrolled: 6-line block ×4, first 2 shown]
	v_cndmask_b32_e64 v15, v15, v12, s[24:25]
	v_cndmask_b32_e64 v11, v15, v7, s[26:27]
	v_and_b32_e32 v11, 0xff, v11
	ds_swizzle_b32 v11, v11 offset:swizzle(SWAP,1)
	s_waitcnt lgkmcnt(0)
	v_cndmask_b32_e64 v5, v5, v11, s[0:1]
	v_cmp_eq_u32_e64 s[0:1], 0, v10
	v_cndmask_b32_e64 v4, v4, v11, s[2:3]
	v_cndmask_b32_e32 v6, v11, v6, vcc
	v_cndmask_b32_e64 v10, 2, 3, s[0:1]
	v_cndmask_b32_e32 v0, v0, v11, vcc
	v_cmp_eq_u32_e64 s[2:3], 1, v10
	v_cndmask_b32_e64 v7, v7, v11, s[26:27]
	v_cndmask_b32_e64 v12, v12, v11, s[24:25]
	;; [unrolled: 1-line block ×13, first 2 shown]
	v_cndmask_b32_e32 v11, v11, v5, vcc
	v_cndmask_b32_e64 v11, v11, v4, s[0:1]
	v_cmp_eq_u32_e64 s[4:5], 4, v10
	v_cmp_eq_u32_e64 s[6:7], 5, v10
	v_cmp_eq_u32_e64 s[8:9], 6, v10
	v_cndmask_b32_e64 v11, v11, v1, s[4:5]
	v_cndmask_b32_e64 v11, v11, v17, s[6:7]
	v_cndmask_b32_e64 v11, v11, v18, s[8:9]
	v_cmp_eq_u32_e64 s[10:11], 7, v10
	v_cmp_eq_u32_e64 s[12:13], 8, v10
	v_cmp_eq_u32_e64 s[14:15], 9, v10
	v_cndmask_b32_e64 v11, v11, v19, s[10:11]
	v_cndmask_b32_e64 v11, v11, v2, s[12:13]
	;; [unrolled: 6-line block ×4, first 2 shown]
	v_cndmask_b32_e64 v11, v11, v7, s[26:27]
	v_and_b32_e32 v11, 0xff, v11
	ds_swizzle_b32 v11, v11 offset:swizzle(SWAP,1)
	s_waitcnt lgkmcnt(0)
	v_cndmask_b32_e64 v6, v6, v11, s[2:3]
	v_cmp_eq_u32_e64 s[2:3], 0, v10
	v_cndmask_b32_e64 v10, 4, 5, s[0:1]
	v_cndmask_b32_e64 v7, v7, v11, s[26:27]
	;; [unrolled: 1-line block ×3, first 2 shown]
	v_cmp_eq_u32_e64 s[2:3], 1, v10
	v_cndmask_b32_e64 v12, v12, v11, s[24:25]
	v_cndmask_b32_e64 v13, v13, v11, s[22:23]
	;; [unrolled: 1-line block ×12, first 2 shown]
	v_cndmask_b32_e32 v5, v5, v11, vcc
	v_cndmask_b32_e64 v11, v0, v6, s[2:3]
	v_cmp_eq_u32_e64 s[4:5], 2, v10
	v_cmp_eq_u32_e64 s[6:7], 3, v10
	;; [unrolled: 1-line block ×3, first 2 shown]
	v_cndmask_b32_e64 v11, v11, v5, s[4:5]
	v_cndmask_b32_e64 v11, v11, v4, s[6:7]
	v_cndmask_b32_e32 v11, v11, v1, vcc
	v_cndmask_b32_e64 v11, v11, v17, s[0:1]
	v_cndmask_b32_e64 v11, v11, v18, s[8:9]
	v_cmp_eq_u32_e64 s[10:11], 7, v10
	v_cmp_eq_u32_e64 s[12:13], 8, v10
	v_cmp_eq_u32_e64 s[14:15], 9, v10
	v_cndmask_b32_e64 v11, v11, v19, s[10:11]
	v_cndmask_b32_e64 v11, v11, v2, s[12:13]
	v_cndmask_b32_e64 v11, v11, v16, s[14:15]
	v_cmp_eq_u32_e64 s[16:17], 10, v10
	v_cmp_eq_u32_e64 s[18:19], 11, v10
	v_cmp_eq_u32_e64 s[20:21], 12, v10
	v_cndmask_b32_e64 v11, v11, v15, s[16:17]
	;; [unrolled: 6-line block ×3, first 2 shown]
	v_cndmask_b32_e64 v11, v11, v12, s[24:25]
	v_cndmask_b32_e64 v11, v11, v7, s[26:27]
	v_and_b32_e32 v11, 0xff, v11
	ds_swizzle_b32 v11, v11 offset:swizzle(SWAP,1)
	s_waitcnt lgkmcnt(0)
	v_cndmask_b32_e64 v6, v6, v11, s[2:3]
	v_cmp_eq_u32_e64 s[2:3], 0, v10
	v_cndmask_b32_e64 v10, 6, 7, s[0:1]
	v_cndmask_b32_e64 v7, v7, v11, s[26:27]
	;; [unrolled: 1-line block ×3, first 2 shown]
	v_cmp_eq_u32_e64 s[2:3], 1, v10
	v_cndmask_b32_e64 v12, v12, v11, s[24:25]
	v_cndmask_b32_e64 v13, v13, v11, s[22:23]
	;; [unrolled: 1-line block ×10, first 2 shown]
	v_cndmask_b32_e32 v1, v1, v11, vcc
	v_cndmask_b32_e64 v4, v4, v11, s[6:7]
	v_cndmask_b32_e64 v5, v5, v11, s[4:5]
	;; [unrolled: 1-line block ×3, first 2 shown]
	v_cmp_eq_u32_e64 s[4:5], 2, v10
	v_cmp_eq_u32_e64 s[6:7], 3, v10
	;; [unrolled: 1-line block ×3, first 2 shown]
	v_cndmask_b32_e64 v11, v11, v5, s[4:5]
	v_cndmask_b32_e64 v11, v11, v4, s[6:7]
	;; [unrolled: 1-line block ×3, first 2 shown]
	v_cmp_eq_u32_e64 s[10:11], 5, v10
	v_cmp_eq_u32_e64 s[12:13], 8, v10
	;; [unrolled: 1-line block ×3, first 2 shown]
	v_cndmask_b32_e64 v11, v11, v17, s[10:11]
	v_cndmask_b32_e32 v11, v11, v18, vcc
	v_cndmask_b32_e64 v11, v11, v19, s[0:1]
	v_cndmask_b32_e64 v11, v11, v2, s[12:13]
	;; [unrolled: 1-line block ×3, first 2 shown]
	v_cmp_eq_u32_e64 s[16:17], 10, v10
	v_cmp_eq_u32_e64 s[18:19], 11, v10
	;; [unrolled: 1-line block ×3, first 2 shown]
	v_cndmask_b32_e64 v11, v11, v15, s[16:17]
	v_cndmask_b32_e64 v11, v11, v14, s[18:19]
	;; [unrolled: 1-line block ×3, first 2 shown]
	v_cmp_eq_u32_e64 s[22:23], 13, v10
	v_cmp_eq_u32_e64 s[24:25], 14, v10
	;; [unrolled: 1-line block ×3, first 2 shown]
	v_cndmask_b32_e64 v11, v11, v13, s[22:23]
	v_cndmask_b32_e64 v11, v11, v12, s[24:25]
	;; [unrolled: 1-line block ×3, first 2 shown]
	v_and_b32_e32 v11, 0xff, v11
	ds_swizzle_b32 v11, v11 offset:swizzle(SWAP,1)
	s_waitcnt lgkmcnt(0)
	v_cndmask_b32_e64 v6, v6, v11, s[2:3]
	v_cmp_eq_u32_e64 s[2:3], 0, v10
	v_cndmask_b32_e64 v10, 8, 9, s[0:1]
	v_cndmask_b32_e64 v7, v7, v11, s[26:27]
	;; [unrolled: 1-line block ×3, first 2 shown]
	v_cmp_eq_u32_e64 s[2:3], 1, v10
	v_cndmask_b32_e64 v12, v12, v11, s[24:25]
	v_cndmask_b32_e64 v13, v13, v11, s[22:23]
	;; [unrolled: 1-line block ×8, first 2 shown]
	v_cndmask_b32_e32 v18, v18, v11, vcc
	v_cndmask_b32_e64 v17, v17, v11, s[10:11]
	v_cndmask_b32_e64 v1, v1, v11, s[8:9]
	;; [unrolled: 1-line block ×5, first 2 shown]
	v_cmp_eq_u32_e64 s[4:5], 2, v10
	v_cmp_eq_u32_e64 s[6:7], 3, v10
	;; [unrolled: 1-line block ×3, first 2 shown]
	v_cndmask_b32_e64 v11, v11, v5, s[4:5]
	v_cndmask_b32_e64 v11, v11, v4, s[6:7]
	;; [unrolled: 1-line block ×3, first 2 shown]
	v_cmp_eq_u32_e64 s[10:11], 5, v10
	v_cmp_eq_u32_e64 s[12:13], 6, v10
	;; [unrolled: 1-line block ×3, first 2 shown]
	v_cndmask_b32_e64 v11, v11, v17, s[10:11]
	v_cndmask_b32_e64 v11, v11, v18, s[12:13]
	;; [unrolled: 1-line block ×3, first 2 shown]
	v_cndmask_b32_e32 v11, v11, v2, vcc
	v_cndmask_b32_e64 v11, v11, v16, s[0:1]
	v_cmp_eq_u32_e64 s[16:17], 10, v10
	v_cmp_eq_u32_e64 s[18:19], 11, v10
	;; [unrolled: 1-line block ×3, first 2 shown]
	v_cndmask_b32_e64 v11, v11, v15, s[16:17]
	v_cndmask_b32_e64 v11, v11, v14, s[18:19]
	;; [unrolled: 1-line block ×3, first 2 shown]
	v_cmp_eq_u32_e64 s[22:23], 13, v10
	v_cmp_eq_u32_e64 s[24:25], 14, v10
	;; [unrolled: 1-line block ×3, first 2 shown]
	v_cndmask_b32_e64 v11, v11, v13, s[22:23]
	v_cndmask_b32_e64 v11, v11, v12, s[24:25]
	;; [unrolled: 1-line block ×3, first 2 shown]
	v_and_b32_e32 v11, 0xff, v11
	ds_swizzle_b32 v11, v11 offset:swizzle(SWAP,1)
	s_waitcnt lgkmcnt(0)
	v_cndmask_b32_e64 v6, v6, v11, s[2:3]
	v_cmp_eq_u32_e64 s[2:3], 0, v10
	v_cndmask_b32_e64 v10, 10, 11, s[0:1]
	v_cndmask_b32_e64 v7, v7, v11, s[26:27]
	;; [unrolled: 1-line block ×3, first 2 shown]
	v_cmp_eq_u32_e64 s[2:3], 1, v10
	v_cndmask_b32_e64 v12, v12, v11, s[24:25]
	v_cndmask_b32_e64 v13, v13, v11, s[22:23]
	v_cndmask_b32_e64 v3, v3, v11, s[20:21]
	v_cndmask_b32_e64 v14, v14, v11, s[18:19]
	v_cndmask_b32_e64 v15, v15, v11, s[16:17]
	v_cndmask_b32_e64 v16, v16, v11, s[0:1]
	v_cndmask_b32_e32 v2, v2, v11, vcc
	v_cndmask_b32_e64 v19, v19, v11, s[14:15]
	v_cndmask_b32_e64 v18, v18, v11, s[12:13]
	;; [unrolled: 1-line block ×7, first 2 shown]
	v_cmp_eq_u32_e64 s[4:5], 2, v10
	v_cmp_eq_u32_e64 s[6:7], 3, v10
	;; [unrolled: 1-line block ×3, first 2 shown]
	v_cndmask_b32_e64 v11, v11, v5, s[4:5]
	v_cndmask_b32_e64 v11, v11, v4, s[6:7]
	;; [unrolled: 1-line block ×3, first 2 shown]
	v_cmp_eq_u32_e64 s[10:11], 5, v10
	v_cmp_eq_u32_e64 s[12:13], 6, v10
	;; [unrolled: 1-line block ×3, first 2 shown]
	v_cndmask_b32_e64 v11, v11, v17, s[10:11]
	v_cndmask_b32_e64 v11, v11, v18, s[12:13]
	;; [unrolled: 1-line block ×3, first 2 shown]
	v_cmp_eq_u32_e64 s[16:17], 8, v10
	v_cmp_eq_u32_e64 s[18:19], 9, v10
	;; [unrolled: 1-line block ×3, first 2 shown]
	v_cndmask_b32_e64 v11, v11, v2, s[16:17]
	v_cndmask_b32_e64 v11, v11, v16, s[18:19]
	v_cndmask_b32_e32 v11, v11, v15, vcc
	v_cndmask_b32_e64 v11, v11, v14, s[0:1]
	v_cndmask_b32_e64 v11, v11, v3, s[20:21]
	v_cmp_eq_u32_e64 s[22:23], 13, v10
	v_cmp_eq_u32_e64 s[24:25], 14, v10
	;; [unrolled: 1-line block ×3, first 2 shown]
	v_cndmask_b32_e64 v11, v11, v13, s[22:23]
	v_cndmask_b32_e64 v11, v11, v12, s[24:25]
	;; [unrolled: 1-line block ×3, first 2 shown]
	v_and_b32_e32 v11, 0xff, v11
	ds_swizzle_b32 v11, v11 offset:swizzle(SWAP,1)
	s_waitcnt lgkmcnt(0)
	v_cndmask_b32_e64 v6, v6, v11, s[2:3]
	v_cmp_eq_u32_e64 s[2:3], 0, v10
	v_cndmask_b32_e64 v10, 12, 13, s[0:1]
	v_cndmask_b32_e64 v7, v7, v11, s[26:27]
	;; [unrolled: 1-line block ×3, first 2 shown]
	v_cmp_eq_u32_e64 s[2:3], 1, v10
	v_cndmask_b32_e64 v12, v12, v11, s[24:25]
	v_cndmask_b32_e64 v13, v13, v11, s[22:23]
	;; [unrolled: 1-line block ×4, first 2 shown]
	v_cndmask_b32_e32 v15, v15, v11, vcc
	v_cndmask_b32_e64 v16, v16, v11, s[18:19]
	v_cndmask_b32_e64 v2, v2, v11, s[16:17]
	;; [unrolled: 1-line block ×9, first 2 shown]
	v_cmp_eq_u32_e64 s[4:5], 2, v10
	v_cmp_eq_u32_e64 s[6:7], 3, v10
	v_cmp_eq_u32_e64 s[8:9], 4, v10
	v_cndmask_b32_e64 v11, v11, v5, s[4:5]
	v_cndmask_b32_e64 v11, v11, v4, s[6:7]
	v_cndmask_b32_e64 v11, v11, v1, s[8:9]
	v_cmp_eq_u32_e64 s[10:11], 5, v10
	v_cmp_eq_u32_e64 s[12:13], 6, v10
	v_cmp_eq_u32_e64 s[14:15], 7, v10
	v_cndmask_b32_e64 v11, v11, v17, s[10:11]
	v_cndmask_b32_e64 v11, v11, v18, s[12:13]
	v_cndmask_b32_e64 v11, v11, v19, s[14:15]
	v_cmp_eq_u32_e64 s[16:17], 8, v10
	v_cmp_eq_u32_e64 s[18:19], 9, v10
	v_cmp_eq_u32_e64 s[20:21], 10, v10
	v_cndmask_b32_e64 v11, v11, v2, s[16:17]
	v_cndmask_b32_e64 v11, v11, v16, s[18:19]
	v_cndmask_b32_e64 v11, v11, v15, s[20:21]
	v_cmp_eq_u32_e64 s[22:23], 11, v10
	v_cmp_eq_u32_e64 s[24:25], 14, v10
	v_cmp_eq_u32_e64 s[26:27], 15, v10
	v_cndmask_b32_e64 v11, v11, v14, s[22:23]
	v_cndmask_b32_e32 v11, v11, v3, vcc
	v_cndmask_b32_e64 v11, v11, v13, s[0:1]
	v_cndmask_b32_e64 v11, v11, v12, s[24:25]
	;; [unrolled: 1-line block ×3, first 2 shown]
	v_and_b32_e32 v11, 0xff, v11
	ds_swizzle_b32 v11, v11 offset:swizzle(SWAP,1)
	s_waitcnt lgkmcnt(0)
	v_cndmask_b32_e64 v21, v6, v11, s[2:3]
	v_cmp_eq_u32_e64 s[2:3], 0, v10
	v_cndmask_b32_e64 v10, 14, 15, s[0:1]
	v_cndmask_b32_e64 v20, v5, v11, s[4:5]
	;; [unrolled: 1-line block ×3, first 2 shown]
	v_cmp_eq_u32_e64 s[2:3], 1, v10
	v_cmp_eq_u32_e64 s[4:5], 2, v10
	v_cndmask_b32_e64 v4, v4, v11, s[6:7]
	v_cndmask_b32_e64 v5, v0, v21, s[2:3]
	v_cndmask_b32_e64 v5, v5, v20, s[4:5]
	v_cmp_eq_u32_e64 s[6:7], 3, v10
	v_cndmask_b32_e64 v1, v1, v11, s[8:9]
	v_cmp_eq_u32_e64 s[8:9], 4, v10
	v_cndmask_b32_e64 v5, v5, v4, s[6:7]
	v_cndmask_b32_e64 v17, v17, v11, s[10:11]
	v_cndmask_b32_e64 v5, v5, v1, s[8:9]
	v_cmp_eq_u32_e64 s[10:11], 5, v10
	v_cndmask_b32_e64 v18, v18, v11, s[12:13]
	v_cmp_eq_u32_e64 s[12:13], 6, v10
	v_cndmask_b32_e64 v5, v5, v17, s[10:11]
	v_cndmask_b32_e64 v19, v19, v11, s[14:15]
	v_cndmask_b32_e64 v5, v5, v18, s[12:13]
	v_cmp_eq_u32_e64 s[14:15], 7, v10
	v_cndmask_b32_e64 v2, v2, v11, s[16:17]
	v_cmp_eq_u32_e64 s[16:17], 8, v10
	v_cndmask_b32_e64 v5, v5, v19, s[14:15]
	v_cndmask_b32_e64 v16, v16, v11, s[18:19]
	v_cndmask_b32_e64 v5, v5, v2, s[16:17]
	v_cmp_eq_u32_e64 s[18:19], 9, v10
	v_cndmask_b32_e64 v15, v15, v11, s[20:21]
	v_cmp_eq_u32_e64 s[20:21], 10, v10
	v_cndmask_b32_e64 v5, v5, v16, s[18:19]
	v_cndmask_b32_e64 v14, v14, v11, s[22:23]
	v_cndmask_b32_e64 v5, v5, v15, s[20:21]
	v_cmp_eq_u32_e64 s[22:23], 11, v10
	v_cndmask_b32_e64 v12, v12, v11, s[24:25]
	v_cndmask_b32_e32 v3, v3, v11, vcc
	v_cndmask_b32_e64 v5, v5, v14, s[22:23]
	v_cmp_eq_u32_e64 s[24:25], 12, v10
	v_cndmask_b32_e64 v7, v7, v11, s[26:27]
	v_cndmask_b32_e64 v13, v13, v11, s[0:1]
	;; [unrolled: 1-line block ×3, first 2 shown]
	v_cmp_eq_u32_e64 s[26:27], 13, v10
	s_nop 1
	v_cndmask_b32_e64 v5, v5, v13, s[26:27]
	v_cndmask_b32_e32 v5, v5, v12, vcc
	v_cndmask_b32_e64 v5, v5, v7, s[0:1]
	v_and_b32_e32 v5, 0xff, v5
	ds_swizzle_b32 v11, v5 offset:swizzle(SWAP,1)
	s_waitcnt lgkmcnt(0)
	v_cndmask_b32_e64 v5, v13, v11, s[26:27]
	v_lshlrev_b16_e32 v5, 8, v5
	v_cndmask_b32_e64 v3, v3, v11, s[24:25]
	v_or_b32_sdwa v3, v3, v5 dst_sel:DWORD dst_unused:UNUSED_PAD src0_sel:BYTE_0 src1_sel:DWORD
	v_cndmask_b32_e64 v5, v7, v11, s[0:1]
	v_lshlrev_b16_e32 v5, 8, v5
	v_cndmask_b32_e32 v6, v12, v11, vcc
	v_or_b32_sdwa v5, v6, v5 dst_sel:WORD_1 dst_unused:UNUSED_PAD src0_sel:BYTE_0 src1_sel:DWORD
	v_cndmask_b32_e64 v2, v2, v11, s[16:17]
	v_or_b32_sdwa v7, v3, v5 dst_sel:DWORD dst_unused:UNUSED_PAD src0_sel:WORD_0 src1_sel:DWORD
	v_cndmask_b32_e64 v3, v16, v11, s[18:19]
	v_lshlrev_b16_e32 v3, 8, v3
	v_or_b32_sdwa v2, v2, v3 dst_sel:DWORD dst_unused:UNUSED_PAD src0_sel:BYTE_0 src1_sel:DWORD
	v_cndmask_b32_e64 v3, v14, v11, s[22:23]
	v_lshlrev_b16_e32 v3, 8, v3
	v_cndmask_b32_e64 v5, v15, v11, s[20:21]
	v_or_b32_sdwa v3, v5, v3 dst_sel:WORD_1 dst_unused:UNUSED_PAD src0_sel:BYTE_0 src1_sel:DWORD
	v_cndmask_b32_e64 v1, v1, v11, s[8:9]
	v_or_b32_sdwa v6, v2, v3 dst_sel:DWORD dst_unused:UNUSED_PAD src0_sel:WORD_0 src1_sel:DWORD
	v_cndmask_b32_e64 v2, v17, v11, s[10:11]
	v_lshlrev_b16_e32 v2, 8, v2
	v_or_b32_sdwa v1, v1, v2 dst_sel:DWORD dst_unused:UNUSED_PAD src0_sel:BYTE_0 src1_sel:DWORD
	v_cndmask_b32_e64 v2, v19, v11, s[14:15]
	v_lshlrev_b16_e32 v2, 8, v2
	v_cndmask_b32_e64 v3, v18, v11, s[12:13]
	v_or_b32_sdwa v2, v3, v2 dst_sel:WORD_1 dst_unused:UNUSED_PAD src0_sel:BYTE_0 src1_sel:DWORD
	v_cmp_eq_u32_e32 vcc, 0, v10
	v_or_b32_sdwa v5, v1, v2 dst_sel:DWORD dst_unused:UNUSED_PAD src0_sel:WORD_0 src1_sel:DWORD
	v_cndmask_b32_e64 v1, v21, v11, s[2:3]
	v_lshlrev_b16_e32 v1, 8, v1
	v_cndmask_b32_e32 v0, v0, v11, vcc
	v_or_b32_sdwa v0, v0, v1 dst_sel:DWORD dst_unused:UNUSED_PAD src0_sel:BYTE_0 src1_sel:DWORD
	v_cndmask_b32_e64 v1, v4, v11, s[6:7]
	v_lshlrev_b16_e32 v1, 8, v1
	v_cndmask_b32_e64 v2, v20, v11, s[4:5]
	v_or_b32_sdwa v1, v2, v1 dst_sel:WORD_1 dst_unused:UNUSED_PAD src0_sel:BYTE_0 src1_sel:DWORD
	s_nop 0
	v_or_b32_sdwa v4, v0, v1 dst_sel:DWORD dst_unused:UNUSED_PAD src0_sel:WORD_0 src1_sel:DWORD
.LBB11_5:
	v_readlane_b32 s0, v43, 0
	v_readlane_b32 s2, v43, 2
	;; [unrolled: 1-line block ×4, first 2 shown]
	s_nop 0
	v_lshl_add_u64 v[0:1], s[2:3], 0, v[8:9]
	global_store_dwordx4 v[0:1], v[4:7], off
	s_endpgm
	.section	.rodata,"a",@progbits
	.p2align	6, 0x0
	.amdhsa_kernel _Z20warp_exchange_kernelILj16ELj16EN6common25StripedToBlockedShuffleOpEaEvPT2_S3_b
		.amdhsa_group_segment_fixed_size 0
		.amdhsa_private_segment_fixed_size 0
		.amdhsa_kernarg_size 20
		.amdhsa_user_sgpr_count 2
		.amdhsa_user_sgpr_dispatch_ptr 0
		.amdhsa_user_sgpr_queue_ptr 0
		.amdhsa_user_sgpr_kernarg_segment_ptr 1
		.amdhsa_user_sgpr_dispatch_id 0
		.amdhsa_user_sgpr_kernarg_preload_length 0
		.amdhsa_user_sgpr_kernarg_preload_offset 0
		.amdhsa_user_sgpr_private_segment_size 0
		.amdhsa_uses_dynamic_stack 0
		.amdhsa_enable_private_segment 0
		.amdhsa_system_sgpr_workgroup_id_x 1
		.amdhsa_system_sgpr_workgroup_id_y 0
		.amdhsa_system_sgpr_workgroup_id_z 0
		.amdhsa_system_sgpr_workgroup_info 0
		.amdhsa_system_vgpr_workitem_id 0
		.amdhsa_next_free_vgpr 44
		.amdhsa_next_free_sgpr 100
		.amdhsa_accum_offset 44
		.amdhsa_reserve_vcc 1
		.amdhsa_float_round_mode_32 0
		.amdhsa_float_round_mode_16_64 0
		.amdhsa_float_denorm_mode_32 3
		.amdhsa_float_denorm_mode_16_64 3
		.amdhsa_dx10_clamp 1
		.amdhsa_ieee_mode 1
		.amdhsa_fp16_overflow 0
		.amdhsa_tg_split 0
		.amdhsa_exception_fp_ieee_invalid_op 0
		.amdhsa_exception_fp_denorm_src 0
		.amdhsa_exception_fp_ieee_div_zero 0
		.amdhsa_exception_fp_ieee_overflow 0
		.amdhsa_exception_fp_ieee_underflow 0
		.amdhsa_exception_fp_ieee_inexact 0
		.amdhsa_exception_int_div_zero 0
	.end_amdhsa_kernel
	.section	.text._Z20warp_exchange_kernelILj16ELj16EN6common25StripedToBlockedShuffleOpEaEvPT2_S3_b,"axG",@progbits,_Z20warp_exchange_kernelILj16ELj16EN6common25StripedToBlockedShuffleOpEaEvPT2_S3_b,comdat
.Lfunc_end11:
	.size	_Z20warp_exchange_kernelILj16ELj16EN6common25StripedToBlockedShuffleOpEaEvPT2_S3_b, .Lfunc_end11-_Z20warp_exchange_kernelILj16ELj16EN6common25StripedToBlockedShuffleOpEaEvPT2_S3_b
                                        ; -- End function
	.section	.AMDGPU.csdata,"",@progbits
; Kernel info:
; codeLenInByte = 27564
; NumSgprs: 106
; NumVgprs: 44
; NumAgprs: 0
; TotalNumVgprs: 44
; ScratchSize: 0
; MemoryBound: 0
; FloatMode: 240
; IeeeMode: 1
; LDSByteSize: 0 bytes/workgroup (compile time only)
; SGPRBlocks: 13
; VGPRBlocks: 5
; NumSGPRsForWavesPerEU: 106
; NumVGPRsForWavesPerEU: 44
; AccumOffset: 44
; Occupancy: 7
; WaveLimiterHint : 0
; COMPUTE_PGM_RSRC2:SCRATCH_EN: 0
; COMPUTE_PGM_RSRC2:USER_SGPR: 2
; COMPUTE_PGM_RSRC2:TRAP_HANDLER: 0
; COMPUTE_PGM_RSRC2:TGID_X_EN: 1
; COMPUTE_PGM_RSRC2:TGID_Y_EN: 0
; COMPUTE_PGM_RSRC2:TGID_Z_EN: 0
; COMPUTE_PGM_RSRC2:TIDIG_COMP_CNT: 0
; COMPUTE_PGM_RSRC3_GFX90A:ACCUM_OFFSET: 10
; COMPUTE_PGM_RSRC3_GFX90A:TG_SPLIT: 0
	.section	.text._Z20warp_exchange_kernelILj8ELj8EN6common25StripedToBlockedShuffleOpEiEvPT2_S3_b,"axG",@progbits,_Z20warp_exchange_kernelILj8ELj8EN6common25StripedToBlockedShuffleOpEiEvPT2_S3_b,comdat
	.protected	_Z20warp_exchange_kernelILj8ELj8EN6common25StripedToBlockedShuffleOpEiEvPT2_S3_b ; -- Begin function _Z20warp_exchange_kernelILj8ELj8EN6common25StripedToBlockedShuffleOpEiEvPT2_S3_b
	.globl	_Z20warp_exchange_kernelILj8ELj8EN6common25StripedToBlockedShuffleOpEiEvPT2_S3_b
	.p2align	8
	.type	_Z20warp_exchange_kernelILj8ELj8EN6common25StripedToBlockedShuffleOpEiEvPT2_S3_b,@function
_Z20warp_exchange_kernelILj8ELj8EN6common25StripedToBlockedShuffleOpEiEvPT2_S3_b: ; @_Z20warp_exchange_kernelILj8ELj8EN6common25StripedToBlockedShuffleOpEiEvPT2_S3_b
; %bb.0:
	s_load_dwordx4 s[4:7], s[2:3], 0x0
	s_load_dword s8, s[2:3], 0x10
	v_and_b32_e32 v10, 0x3ff, v0
	v_lshlrev_b32_e32 v1, 5, v10
	v_mbcnt_lo_u32_b32 v11, -1, 0
	s_waitcnt lgkmcnt(0)
	global_load_dwordx4 v[2:5], v1, s[4:5] offset:16
	global_load_dwordx4 v[6:9], v1, s[4:5]
	v_mbcnt_hi_u32_b32 v11, -1, v11
	v_and_b32_e32 v12, 4, v11
	v_lshlrev_b32_e32 v13, 2, v12
	v_cmp_eq_u32_e32 vcc, 0, v12
	s_bitcmp0_b32 s8, 0
	v_lshlrev_b32_e32 v1, 3, v10
	v_xor_b32_e32 v23, 16, v13
	v_cndmask_b32_e64 v22, 4, 20, vcc
	v_cndmask_b32_e64 v21, 8, 24, vcc
	;; [unrolled: 1-line block ×3, first 2 shown]
	v_and_b32_e32 v20, 2, v11
	v_and_b32_e32 v18, 1, v11
	s_cbranch_scc0 .LBB12_2
; %bb.1:
	s_load_dwordx2 s[0:1], s[0:1], 0x4
	v_bfe_u32 v11, v0, 10, 10
	v_bfe_u32 v0, v0, 20, 10
	v_cmp_eq_u32_e32 vcc, 0, v20
	s_waitcnt lgkmcnt(0)
	s_lshr_b32 s0, s0, 16
	s_mul_i32 s0, s0, s1
	v_mul_lo_u32 v10, s0, v10
	v_mad_u32_u24 v10, v11, s1, v10
	v_add_lshl_u32 v0, v10, v0, 5
	s_waitcnt vmcnt(0)
	ds_write_b128 v0, v[6:9]
	ds_write_b128 v0, v[2:5] offset:16
	v_or_b32_e32 v10, v0, v23
	ds_read_b32 v11, v10
	v_or_b32_e32 v12, v0, v22
	v_or_b32_e32 v13, v0, v19
	v_cndmask_b32_e64 v14, 4, 12, vcc
	v_cndmask_b32_e64 v15, 16, 24, vcc
	s_waitcnt lgkmcnt(0)
	ds_swizzle_b32 v11, v11 offset:swizzle(SWAP,4)
	v_or_b32_e32 v14, v0, v14
	v_or_b32_e32 v15, v0, v15
	v_cndmask_b32_e64 v16, 20, 28, vcc
	v_or_b32_e32 v16, v0, v16
	s_waitcnt lgkmcnt(0)
	ds_write_b32 v10, v11
	ds_read_b32 v10, v12
	v_or_b32_e32 v11, v0, v21
	v_cmp_eq_u32_e64 s[0:1], 0, v18
	s_waitcnt lgkmcnt(0)
	ds_swizzle_b32 v10, v10 offset:swizzle(SWAP,4)
	v_cndmask_b32_e64 v17, 24, 28, s[0:1]
	v_or_b32_e32 v17, v0, v17
	s_waitcnt lgkmcnt(0)
	ds_write_b32 v12, v10
	ds_read_b32 v10, v11
	v_lshlrev_b32_e32 v12, 2, v20
	v_xor_b32_e32 v12, 8, v12
	v_or_b32_e32 v12, v0, v12
	s_waitcnt lgkmcnt(0)
	ds_swizzle_b32 v10, v10 offset:swizzle(SWAP,4)
	s_waitcnt lgkmcnt(0)
	ds_write_b32 v11, v10
	ds_read_b32 v10, v13
	ds_read_b32 v11, v12
	s_waitcnt lgkmcnt(1)
	ds_swizzle_b32 v10, v10 offset:swizzle(SWAP,4)
	s_waitcnt lgkmcnt(1)
	ds_swizzle_b32 v11, v11 offset:swizzle(SWAP,2)
	s_waitcnt lgkmcnt(1)
	ds_write_b32 v13, v10
	s_waitcnt lgkmcnt(1)
	ds_write_b32 v12, v11
	ds_read_b32 v10, v14
	ds_read_b32 v11, v15
	v_lshlrev_b32_e32 v12, 2, v18
	v_xor_b32_e32 v12, 4, v12
	v_cndmask_b32_e64 v13, 8, 12, s[0:1]
	s_waitcnt lgkmcnt(1)
	ds_swizzle_b32 v10, v10 offset:swizzle(SWAP,2)
	s_waitcnt lgkmcnt(1)
	ds_swizzle_b32 v11, v11 offset:swizzle(SWAP,2)
	v_or_b32_e32 v12, v0, v12
	v_or_b32_e32 v13, v0, v13
	s_waitcnt lgkmcnt(1)
	ds_write_b32 v14, v10
	s_waitcnt lgkmcnt(1)
	ds_write_b32 v15, v11
	ds_read_b32 v11, v16
	ds_read_b32 v10, v12
	ds_read_b32 v14, v13
	v_cndmask_b32_e64 v15, 16, 20, s[0:1]
	v_or_b32_e32 v15, v0, v15
	s_waitcnt lgkmcnt(2)
	ds_swizzle_b32 v11, v11 offset:swizzle(SWAP,2)
	s_waitcnt lgkmcnt(2)
	ds_swizzle_b32 v10, v10 offset:swizzle(SWAP,1)
	;; [unrolled: 2-line block ×3, first 2 shown]
	s_waitcnt lgkmcnt(2)
	ds_write_b32 v16, v11
	ds_read_b32 v11, v15
	ds_read_b32 v16, v17
	s_waitcnt lgkmcnt(1)
	ds_swizzle_b32 v11, v11 offset:swizzle(SWAP,1)
	s_waitcnt lgkmcnt(1)
	ds_swizzle_b32 v16, v16 offset:swizzle(SWAP,1)
	ds_write_b32 v12, v10
	ds_write_b32 v13, v14
	s_waitcnt lgkmcnt(3)
	ds_write_b32 v15, v11
	s_waitcnt lgkmcnt(3)
	ds_write_b32 v17, v16
	ds_read_b128 v[10:13], v0
	ds_read_b128 v[14:17], v0 offset:16
	s_cbranch_execz .LBB12_3
	s_branch .LBB12_4
.LBB12_2:
                                        ; implicit-def: $vgpr16_vgpr17
                                        ; implicit-def: $vgpr12_vgpr13
.LBB12_3:
	s_waitcnt vmcnt(0)
	scratch_store_dwordx4 off, v[6:9], off
	scratch_store_dwordx4 off, v[2:5], off offset:16
	scratch_load_dword v0, v23, off
	v_cmp_eq_u32_e32 vcc, 0, v20
	v_lshlrev_b32_e32 v2, 2, v20
	v_xor_b32_e32 v2, 8, v2
	v_or_b32_e32 v2, 0, v2
	v_cndmask_b32_e64 v4, 16, 24, vcc
	v_cndmask_b32_e64 v3, 4, 12, vcc
	v_or_b32_e32 v3, 0, v3
	v_cndmask_b32_e64 v6, 20, 28, vcc
	v_cmp_eq_u32_e32 vcc, 0, v18
	s_waitcnt vmcnt(0)
	ds_swizzle_b32 v0, v0 offset:swizzle(SWAP,4)
	v_cndmask_b32_e64 v7, 16, 20, vcc
	v_cndmask_b32_e64 v8, 24, 28, vcc
	s_waitcnt lgkmcnt(0)
	scratch_store_dword v23, v0, off
	scratch_load_dword v0, v22, off
	s_waitcnt vmcnt(0)
	ds_swizzle_b32 v0, v0 offset:swizzle(SWAP,4)
	s_waitcnt lgkmcnt(0)
	scratch_store_dword v22, v0, off
	scratch_load_dword v0, v21, off
	s_waitcnt vmcnt(0)
	ds_swizzle_b32 v0, v0 offset:swizzle(SWAP,4)
	;; [unrolled: 5-line block ×3, first 2 shown]
	s_waitcnt lgkmcnt(0)
	scratch_store_dword v19, v0, off
	scratch_load_dword v0, v2, off
	s_nop 0
	scratch_load_dword v5, v4, off
	s_waitcnt vmcnt(1)
	ds_swizzle_b32 v0, v0 offset:swizzle(SWAP,2)
	s_waitcnt vmcnt(0)
	ds_swizzle_b32 v5, v5 offset:swizzle(SWAP,2)
	s_waitcnt lgkmcnt(1)
	scratch_store_dword v2, v0, off
	s_waitcnt lgkmcnt(0)
	scratch_store_dword v4, v5, off
	scratch_load_dword v0, v3, off
	scratch_load_dword v2, v6, off
	v_lshlrev_b32_e32 v4, 2, v18
	v_xor_b32_e32 v4, 4, v4
	v_cndmask_b32_e64 v5, 8, 12, vcc
	v_or_b32_e32 v4, 0, v4
	v_or_b32_e32 v5, 0, v5
	s_waitcnt vmcnt(1)
	ds_swizzle_b32 v0, v0 offset:swizzle(SWAP,2)
	s_waitcnt vmcnt(0)
	ds_swizzle_b32 v2, v2 offset:swizzle(SWAP,2)
	s_waitcnt lgkmcnt(1)
	scratch_store_dword v3, v0, off
	s_waitcnt lgkmcnt(0)
	scratch_store_dword v6, v2, off
	scratch_load_dword v0, v4, off
	s_nop 0
	scratch_load_dword v2, v5, off
	scratch_load_dword v3, v7, off
	;; [unrolled: 1-line block ×3, first 2 shown]
	s_waitcnt vmcnt(3)
	ds_swizzle_b32 v0, v0 offset:swizzle(SWAP,1)
	s_waitcnt vmcnt(2)
	ds_swizzle_b32 v2, v2 offset:swizzle(SWAP,1)
	s_waitcnt vmcnt(1)
	ds_swizzle_b32 v3, v3 offset:swizzle(SWAP,1)
	s_waitcnt vmcnt(0)
	ds_swizzle_b32 v6, v6 offset:swizzle(SWAP,1)
	s_waitcnt lgkmcnt(3)
	scratch_store_dword v4, v0, off
	s_waitcnt lgkmcnt(2)
	scratch_store_dword v5, v2, off
	;; [unrolled: 2-line block ×4, first 2 shown]
	scratch_load_dwordx4 v[10:13], off, off
	scratch_load_dwordx4 v[14:17], off, off offset:16
.LBB12_4:
	v_lshlrev_b32_e32 v0, 2, v1
	s_waitcnt vmcnt(1) lgkmcnt(1)
	global_store_dwordx4 v0, v[10:13], s[6:7]
	s_waitcnt vmcnt(1) lgkmcnt(0)
	global_store_dwordx4 v0, v[14:17], s[6:7] offset:16
	s_endpgm
	.section	.rodata,"a",@progbits
	.p2align	6, 0x0
	.amdhsa_kernel _Z20warp_exchange_kernelILj8ELj8EN6common25StripedToBlockedShuffleOpEiEvPT2_S3_b
		.amdhsa_group_segment_fixed_size 32768
		.amdhsa_private_segment_fixed_size 48
		.amdhsa_kernarg_size 20
		.amdhsa_user_sgpr_count 4
		.amdhsa_user_sgpr_dispatch_ptr 1
		.amdhsa_user_sgpr_queue_ptr 0
		.amdhsa_user_sgpr_kernarg_segment_ptr 1
		.amdhsa_user_sgpr_dispatch_id 0
		.amdhsa_user_sgpr_kernarg_preload_length 0
		.amdhsa_user_sgpr_kernarg_preload_offset 0
		.amdhsa_user_sgpr_private_segment_size 0
		.amdhsa_uses_dynamic_stack 0
		.amdhsa_enable_private_segment 1
		.amdhsa_system_sgpr_workgroup_id_x 1
		.amdhsa_system_sgpr_workgroup_id_y 0
		.amdhsa_system_sgpr_workgroup_id_z 0
		.amdhsa_system_sgpr_workgroup_info 0
		.amdhsa_system_vgpr_workitem_id 2
		.amdhsa_next_free_vgpr 24
		.amdhsa_next_free_sgpr 9
		.amdhsa_accum_offset 24
		.amdhsa_reserve_vcc 1
		.amdhsa_float_round_mode_32 0
		.amdhsa_float_round_mode_16_64 0
		.amdhsa_float_denorm_mode_32 3
		.amdhsa_float_denorm_mode_16_64 3
		.amdhsa_dx10_clamp 1
		.amdhsa_ieee_mode 1
		.amdhsa_fp16_overflow 0
		.amdhsa_tg_split 0
		.amdhsa_exception_fp_ieee_invalid_op 0
		.amdhsa_exception_fp_denorm_src 0
		.amdhsa_exception_fp_ieee_div_zero 0
		.amdhsa_exception_fp_ieee_overflow 0
		.amdhsa_exception_fp_ieee_underflow 0
		.amdhsa_exception_fp_ieee_inexact 0
		.amdhsa_exception_int_div_zero 0
	.end_amdhsa_kernel
	.section	.text._Z20warp_exchange_kernelILj8ELj8EN6common25StripedToBlockedShuffleOpEiEvPT2_S3_b,"axG",@progbits,_Z20warp_exchange_kernelILj8ELj8EN6common25StripedToBlockedShuffleOpEiEvPT2_S3_b,comdat
.Lfunc_end12:
	.size	_Z20warp_exchange_kernelILj8ELj8EN6common25StripedToBlockedShuffleOpEiEvPT2_S3_b, .Lfunc_end12-_Z20warp_exchange_kernelILj8ELj8EN6common25StripedToBlockedShuffleOpEiEvPT2_S3_b
                                        ; -- End function
	.section	.AMDGPU.csdata,"",@progbits
; Kernel info:
; codeLenInByte = 1276
; NumSgprs: 15
; NumVgprs: 24
; NumAgprs: 0
; TotalNumVgprs: 24
; ScratchSize: 48
; MemoryBound: 0
; FloatMode: 240
; IeeeMode: 1
; LDSByteSize: 32768 bytes/workgroup (compile time only)
; SGPRBlocks: 1
; VGPRBlocks: 2
; NumSGPRsForWavesPerEU: 15
; NumVGPRsForWavesPerEU: 24
; AccumOffset: 24
; Occupancy: 8
; WaveLimiterHint : 0
; COMPUTE_PGM_RSRC2:SCRATCH_EN: 1
; COMPUTE_PGM_RSRC2:USER_SGPR: 4
; COMPUTE_PGM_RSRC2:TRAP_HANDLER: 0
; COMPUTE_PGM_RSRC2:TGID_X_EN: 1
; COMPUTE_PGM_RSRC2:TGID_Y_EN: 0
; COMPUTE_PGM_RSRC2:TGID_Z_EN: 0
; COMPUTE_PGM_RSRC2:TIDIG_COMP_CNT: 2
; COMPUTE_PGM_RSRC3_GFX90A:ACCUM_OFFSET: 5
; COMPUTE_PGM_RSRC3_GFX90A:TG_SPLIT: 0
	.section	.text._Z20warp_exchange_kernelILj4ELj8EN6common25StripedToBlockedShuffleOpE12hip_bfloat16EvPT2_S4_b,"axG",@progbits,_Z20warp_exchange_kernelILj4ELj8EN6common25StripedToBlockedShuffleOpE12hip_bfloat16EvPT2_S4_b,comdat
	.protected	_Z20warp_exchange_kernelILj4ELj8EN6common25StripedToBlockedShuffleOpE12hip_bfloat16EvPT2_S4_b ; -- Begin function _Z20warp_exchange_kernelILj4ELj8EN6common25StripedToBlockedShuffleOpE12hip_bfloat16EvPT2_S4_b
	.globl	_Z20warp_exchange_kernelILj4ELj8EN6common25StripedToBlockedShuffleOpE12hip_bfloat16EvPT2_S4_b
	.p2align	8
	.type	_Z20warp_exchange_kernelILj4ELj8EN6common25StripedToBlockedShuffleOpE12hip_bfloat16EvPT2_S4_b,@function
_Z20warp_exchange_kernelILj4ELj8EN6common25StripedToBlockedShuffleOpE12hip_bfloat16EvPT2_S4_b: ; @_Z20warp_exchange_kernelILj4ELj8EN6common25StripedToBlockedShuffleOpE12hip_bfloat16EvPT2_S4_b
; %bb.0:
	s_load_dwordx4 s[4:7], s[2:3], 0x0
	s_load_dword s8, s[2:3], 0x10
	v_and_b32_e32 v1, 0x3ff, v0
	v_lshlrev_b32_e32 v2, 3, v1
	s_load_dwordx2 s[0:1], s[0:1], 0x4
	s_waitcnt lgkmcnt(0)
	global_load_dwordx2 v[2:3], v2, s[4:5]
	v_mbcnt_lo_u32_b32 v4, -1, 0
	v_bfe_u32 v5, v0, 10, 10
	v_bfe_u32 v0, v0, 20, 10
	s_lshr_b32 s0, s0, 16
	s_mul_i32 s0, s0, s1
	v_mbcnt_hi_u32_b32 v4, -1, v4
	v_lshlrev_b32_e32 v6, 2, v1
	v_mul_u32_u24_e32 v5, s1, v5
	v_mul_lo_u32 v1, s0, v1
	v_lshlrev_b32_e32 v8, 2, v4
	v_bfe_u32 v11, v4, 2, 1
	s_and_b32 s2, s8, 1
	v_add3_u32 v0, v1, v5, v0
	v_and_b32_e32 v7, 3, v4
	v_xor_b32_e32 v9, 16, v8
	v_xor_b32_e32 v13, 1, v11
	;; [unrolled: 1-line block ×3, first 2 shown]
	s_cmp_eq_u32 s2, 0
	v_lshlrev_b32_e32 v8, 3, v0
	v_add_u32_e32 v10, -1, v4
	s_waitcnt vmcnt(0)
	v_and_b32_e32 v14, 0xffff, v3
	v_lshrrev_b32_e32 v15, 16, v3
	s_cbranch_scc0 .LBB13_2
; %bb.1:
	ds_bpermute_b32 v1, v9, v14
	ds_bpermute_b32 v4, v9, v15
	v_add_u32_e32 v0, 0x2000, v8
	v_lshl_or_b32 v5, v11, 1, v0
	ds_write_b64 v8, v[2:3] offset:8192
	ds_write_b16 v5, v2
	ds_write_b16_d16_hi v5, v2 offset:4
	v_lshl_or_b32 v5, v13, 1, v0
	v_lshl_or_b32 v0, v12, 1, v0
	s_waitcnt lgkmcnt(4)
	ds_write_b16 v5, v1
	s_waitcnt lgkmcnt(4)
	ds_write_b16 v0, v4
	ds_read_b64 v[0:1], v8 offset:8192
	v_lshl_or_b32 v16, v7, 1, v8
	s_waitcnt lgkmcnt(0)
	v_lshrrev_b32_e32 v4, 16, v0
	ds_bpermute_b32 v4, v9, v4
	v_lshrrev_b32_e32 v5, 16, v1
	ds_bpermute_b32 v5, v9, v5
	ds_write_b16 v16, v0
	v_and_b32_e32 v0, 3, v10
	s_waitcnt lgkmcnt(2)
	v_and_b32_e32 v4, 0xffff, v4
	v_lshl_or_b32 v0, v0, 1, v8
	v_and_b32_e32 v1, 0xffff, v1
	v_mov_b32_dpp v4, v4 quad_perm:[3,0,1,2] row_mask:0xf bank_mask:0xf
	ds_write_b16 v0, v4
	v_xor_b32_e32 v0, 2, v7
	v_lshl_or_b32 v4, v0, 1, v8
	v_add_u32_e32 v0, -1, v0
	s_waitcnt lgkmcnt(2)
	v_and_b32_e32 v5, 0xffff, v5
	v_and_b32_e32 v0, 3, v0
	v_mov_b32_dpp v1, v1 quad_perm:[2,3,0,1] row_mask:0xf bank_mask:0xf
	v_mov_b32_dpp v5, v5 quad_perm:[1,2,3,0] row_mask:0xf bank_mask:0xf
	v_lshl_or_b32 v0, v0, 1, v8
	ds_write_b16 v4, v1
	ds_write_b16 v0, v5
	ds_read_b64 v[0:1], v8
	s_waitcnt lgkmcnt(0)
	v_lshrrev_b32_e32 v4, 16, v0
	v_lshrrev_b32_e32 v16, 16, v1
	v_and_b32_e32 v1, 0xffff, v1
	v_mov_b32_dpp v4, v4 quad_perm:[1,2,3,0] row_mask:0xf bank_mask:0xf
	s_nop 0
	v_mov_b32_dpp v5, v1 quad_perm:[2,3,0,1] row_mask:0xf bank_mask:0xf
	v_mov_b32_dpp v1, v16 quad_perm:[3,0,1,2] row_mask:0xf bank_mask:0xf
	s_cbranch_execz .LBB13_3
	s_branch .LBB13_4
.LBB13_2:
                                        ; implicit-def: $vgpr1
                                        ; implicit-def: $vgpr0
                                        ; implicit-def: $vgpr4_vgpr5
.LBB13_3:
	ds_write_b64 v8, v[2:3] offset:24576
	ds_bpermute_b32 v1, v9, v14
	ds_bpermute_b32 v3, v9, v15
	v_add_u32_e32 v0, 0x6000, v8
	v_lshl_or_b32 v4, v11, 1, v0
	ds_write_b16 v4, v2
	ds_write_b16_d16_hi v4, v2 offset:4
	v_lshl_or_b32 v2, v13, 1, v0
	v_lshl_or_b32 v0, v12, 1, v0
	s_waitcnt lgkmcnt(3)
	ds_write_b16 v2, v1
	s_waitcnt lgkmcnt(3)
	ds_write_b16 v0, v3
	ds_read_b64 v[0:1], v8 offset:24576
	v_add_u32_e32 v3, 0x4000, v8
	v_lshl_or_b32 v5, v7, 1, v3
	s_waitcnt lgkmcnt(0)
	v_lshrrev_b32_e32 v2, 16, v0
	ds_bpermute_b32 v2, v9, v2
	v_lshrrev_b32_e32 v4, 16, v1
	ds_bpermute_b32 v4, v9, v4
	ds_write_b16 v5, v0
	v_and_b32_e32 v0, 3, v10
	s_waitcnt lgkmcnt(2)
	v_and_b32_e32 v2, 0xffff, v2
	v_lshl_or_b32 v0, v0, 1, v3
	v_and_b32_e32 v1, 0xffff, v1
	v_mov_b32_dpp v2, v2 quad_perm:[3,0,1,2] row_mask:0xf bank_mask:0xf
	ds_write_b16 v0, v2
	v_xor_b32_e32 v0, 2, v7
	v_lshl_or_b32 v2, v0, 1, v3
	v_add_u32_e32 v0, -1, v0
	s_waitcnt lgkmcnt(2)
	v_and_b32_e32 v4, 0xffff, v4
	v_and_b32_e32 v0, 3, v0
	v_mov_b32_dpp v1, v1 quad_perm:[2,3,0,1] row_mask:0xf bank_mask:0xf
	v_mov_b32_dpp v4, v4 quad_perm:[1,2,3,0] row_mask:0xf bank_mask:0xf
	v_lshl_or_b32 v0, v0, 1, v3
	ds_write_b16 v2, v1
	ds_write_b16 v0, v4
	ds_read_b64 v[0:1], v8 offset:16384
	s_waitcnt lgkmcnt(0)
	v_lshrrev_b32_e32 v2, 16, v0
	v_lshrrev_b32_e32 v3, 16, v1
	v_and_b32_e32 v1, 0xffff, v1
	v_mov_b32_dpp v4, v2 quad_perm:[1,2,3,0] row_mask:0xf bank_mask:0xf
	s_nop 0
	v_mov_b32_dpp v5, v1 quad_perm:[2,3,0,1] row_mask:0xf bank_mask:0xf
	v_mov_b32_dpp v1, v3 quad_perm:[3,0,1,2] row_mask:0xf bank_mask:0xf
.LBB13_4:
	s_mov_b32 s0, 0x5040100
	v_lshlrev_b32_e32 v2, 1, v6
	v_perm_b32 v0, v4, v0, s0
	v_perm_b32 v1, v1, v5, s0
	global_store_dwordx2 v2, v[0:1], s[6:7]
	s_endpgm
	.section	.rodata,"a",@progbits
	.p2align	6, 0x0
	.amdhsa_kernel _Z20warp_exchange_kernelILj4ELj8EN6common25StripedToBlockedShuffleOpE12hip_bfloat16EvPT2_S4_b
		.amdhsa_group_segment_fixed_size 32768
		.amdhsa_private_segment_fixed_size 0
		.amdhsa_kernarg_size 20
		.amdhsa_user_sgpr_count 4
		.amdhsa_user_sgpr_dispatch_ptr 1
		.amdhsa_user_sgpr_queue_ptr 0
		.amdhsa_user_sgpr_kernarg_segment_ptr 1
		.amdhsa_user_sgpr_dispatch_id 0
		.amdhsa_user_sgpr_kernarg_preload_length 0
		.amdhsa_user_sgpr_kernarg_preload_offset 0
		.amdhsa_user_sgpr_private_segment_size 0
		.amdhsa_uses_dynamic_stack 0
		.amdhsa_enable_private_segment 0
		.amdhsa_system_sgpr_workgroup_id_x 1
		.amdhsa_system_sgpr_workgroup_id_y 0
		.amdhsa_system_sgpr_workgroup_id_z 0
		.amdhsa_system_sgpr_workgroup_info 0
		.amdhsa_system_vgpr_workitem_id 2
		.amdhsa_next_free_vgpr 17
		.amdhsa_next_free_sgpr 9
		.amdhsa_accum_offset 20
		.amdhsa_reserve_vcc 0
		.amdhsa_float_round_mode_32 0
		.amdhsa_float_round_mode_16_64 0
		.amdhsa_float_denorm_mode_32 3
		.amdhsa_float_denorm_mode_16_64 3
		.amdhsa_dx10_clamp 1
		.amdhsa_ieee_mode 1
		.amdhsa_fp16_overflow 0
		.amdhsa_tg_split 0
		.amdhsa_exception_fp_ieee_invalid_op 0
		.amdhsa_exception_fp_denorm_src 0
		.amdhsa_exception_fp_ieee_div_zero 0
		.amdhsa_exception_fp_ieee_overflow 0
		.amdhsa_exception_fp_ieee_underflow 0
		.amdhsa_exception_fp_ieee_inexact 0
		.amdhsa_exception_int_div_zero 0
	.end_amdhsa_kernel
	.section	.text._Z20warp_exchange_kernelILj4ELj8EN6common25StripedToBlockedShuffleOpE12hip_bfloat16EvPT2_S4_b,"axG",@progbits,_Z20warp_exchange_kernelILj4ELj8EN6common25StripedToBlockedShuffleOpE12hip_bfloat16EvPT2_S4_b,comdat
.Lfunc_end13:
	.size	_Z20warp_exchange_kernelILj4ELj8EN6common25StripedToBlockedShuffleOpE12hip_bfloat16EvPT2_S4_b, .Lfunc_end13-_Z20warp_exchange_kernelILj4ELj8EN6common25StripedToBlockedShuffleOpE12hip_bfloat16EvPT2_S4_b
                                        ; -- End function
	.section	.AMDGPU.csdata,"",@progbits
; Kernel info:
; codeLenInByte = 880
; NumSgprs: 15
; NumVgprs: 17
; NumAgprs: 0
; TotalNumVgprs: 17
; ScratchSize: 0
; MemoryBound: 0
; FloatMode: 240
; IeeeMode: 1
; LDSByteSize: 32768 bytes/workgroup (compile time only)
; SGPRBlocks: 1
; VGPRBlocks: 2
; NumSGPRsForWavesPerEU: 15
; NumVGPRsForWavesPerEU: 17
; AccumOffset: 20
; Occupancy: 8
; WaveLimiterHint : 0
; COMPUTE_PGM_RSRC2:SCRATCH_EN: 0
; COMPUTE_PGM_RSRC2:USER_SGPR: 4
; COMPUTE_PGM_RSRC2:TRAP_HANDLER: 0
; COMPUTE_PGM_RSRC2:TGID_X_EN: 1
; COMPUTE_PGM_RSRC2:TGID_Y_EN: 0
; COMPUTE_PGM_RSRC2:TGID_Z_EN: 0
; COMPUTE_PGM_RSRC2:TIDIG_COMP_CNT: 2
; COMPUTE_PGM_RSRC3_GFX90A:ACCUM_OFFSET: 4
; COMPUTE_PGM_RSRC3_GFX90A:TG_SPLIT: 0
	.section	.text._Z20warp_exchange_kernelILj4ELj64EN6common25StripedToBlockedShuffleOpEdEvPT2_S3_b,"axG",@progbits,_Z20warp_exchange_kernelILj4ELj64EN6common25StripedToBlockedShuffleOpEdEvPT2_S3_b,comdat
	.protected	_Z20warp_exchange_kernelILj4ELj64EN6common25StripedToBlockedShuffleOpEdEvPT2_S3_b ; -- Begin function _Z20warp_exchange_kernelILj4ELj64EN6common25StripedToBlockedShuffleOpEdEvPT2_S3_b
	.globl	_Z20warp_exchange_kernelILj4ELj64EN6common25StripedToBlockedShuffleOpEdEvPT2_S3_b
	.p2align	8
	.type	_Z20warp_exchange_kernelILj4ELj64EN6common25StripedToBlockedShuffleOpEdEvPT2_S3_b,@function
_Z20warp_exchange_kernelILj4ELj64EN6common25StripedToBlockedShuffleOpEdEvPT2_S3_b: ; @_Z20warp_exchange_kernelILj4ELj64EN6common25StripedToBlockedShuffleOpEdEvPT2_S3_b
; %bb.0:
	s_load_dwordx4 s[4:7], s[0:1], 0x0
	s_load_dword s2, s[0:1], 0x10
	v_lshlrev_b32_e32 v1, 5, v0
	v_lshlrev_b32_e32 v0, 2, v0
	s_waitcnt lgkmcnt(0)
	global_load_dwordx4 v[6:9], v1, s[4:5]
	global_load_dwordx4 v[2:5], v1, s[4:5] offset:16
	v_mbcnt_lo_u32_b32 v1, -1, 0
	v_mbcnt_hi_u32_b32 v1, -1, v1
	v_lshlrev_b32_e32 v10, 2, v1
	v_and_b32_e32 v11, 64, v1
	v_and_or_b32 v10, v10, 60, v11
	v_lshrrev_b32_e32 v1, 4, v1
	s_bitcmp0_b32 s2, 0
	v_cmp_eq_u32_e64 s[0:1], 3, v1
	v_cmp_eq_u32_e64 s[2:3], 2, v1
	;; [unrolled: 1-line block ×3, first 2 shown]
	v_lshlrev_b32_e32 v11, 2, v10
	v_lshlrev_b32_e32 v10, 3, v0
	s_cbranch_scc0 .LBB14_2
; %bb.1:
	s_waitcnt vmcnt(1)
	ds_bpermute_b32 v0, v11, v7
	ds_bpermute_b32 v1, v11, v9
	;; [unrolled: 1-line block ×4, first 2 shown]
	s_waitcnt vmcnt(0)
	ds_bpermute_b32 v15, v11, v5
	ds_bpermute_b32 v14, v11, v2
	s_waitcnt lgkmcnt(4)
	v_cndmask_b32_e64 v0, v0, v1, s[4:5]
	ds_bpermute_b32 v1, v11, v3
	s_waitcnt lgkmcnt(3)
	v_cndmask_b32_e64 v12, v12, v13, s[4:5]
	ds_bpermute_b32 v16, v11, v4
	ds_bpermute_b32 v17, v11, v3 offset:4
	s_waitcnt lgkmcnt(3)
	v_cndmask_b32_e64 v12, v12, v14, s[2:3]
	s_waitcnt lgkmcnt(2)
	v_cndmask_b32_e64 v0, v0, v1, s[2:3]
	v_cndmask_b32_e64 v13, v0, v15, s[0:1]
	ds_bpermute_b32 v0, v11, v7 offset:4
	ds_bpermute_b32 v1, v11, v9 offset:4
	;; [unrolled: 1-line block ×4, first 2 shown]
	s_waitcnt lgkmcnt(5)
	v_cndmask_b32_e64 v12, v12, v16, s[0:1]
	ds_bpermute_b32 v16, v11, v2 offset:4
	s_waitcnt lgkmcnt(3)
	v_cndmask_b32_e64 v0, v0, v1, s[4:5]
	ds_bpermute_b32 v1, v11, v5 offset:4
	v_cndmask_b32_e64 v0, v0, v17, s[2:3]
	s_waitcnt lgkmcnt(2)
	v_cndmask_b32_e64 v14, v14, v15, s[4:5]
	s_waitcnt lgkmcnt(1)
	v_cndmask_b32_e64 v14, v14, v16, s[2:3]
	ds_bpermute_b32 v16, v11, v4 offset:4
	s_waitcnt lgkmcnt(1)
	v_cndmask_b32_e64 v15, v0, v1, s[0:1]
	ds_bpermute_b32 v0, v11, v7 offset:8
	ds_bpermute_b32 v1, v11, v9 offset:8
	;; [unrolled: 1-line block ×5, first 2 shown]
	s_waitcnt lgkmcnt(5)
	v_cndmask_b32_e64 v14, v14, v16, s[0:1]
	s_waitcnt lgkmcnt(3)
	v_cndmask_b32_e64 v0, v0, v1, s[4:5]
	ds_bpermute_b32 v1, v11, v3 offset:8
	s_waitcnt lgkmcnt(2)
	v_cndmask_b32_e64 v16, v17, v18, s[4:5]
	ds_bpermute_b32 v17, v11, v5 offset:8
	ds_bpermute_b32 v18, v11, v4 offset:8
	s_waitcnt lgkmcnt(3)
	v_cndmask_b32_e64 v16, v16, v19, s[2:3]
	s_waitcnt lgkmcnt(2)
	v_cndmask_b32_e64 v0, v0, v1, s[2:3]
	ds_bpermute_b32 v1, v11, v7 offset:12
	ds_bpermute_b32 v19, v11, v9 offset:12
	s_waitcnt lgkmcnt(3)
	v_cndmask_b32_e64 v17, v0, v17, s[0:1]
	;; [unrolled: 6-line block ×3, first 2 shown]
	ds_bpermute_b32 v19, v11, v2 offset:12
	ds_bpermute_b32 v20, v11, v3 offset:12
	;; [unrolled: 1-line block ×4, first 2 shown]
	s_waitcnt lgkmcnt(4)
	v_cndmask_b32_e64 v0, v0, v18, s[4:5]
	s_waitcnt lgkmcnt(3)
	v_cndmask_b32_e64 v0, v0, v19, s[2:3]
	;; [unrolled: 2-line block ×5, first 2 shown]
	global_store_dwordx4 v10, v[12:15], s[6:7]
	global_store_dwordx2 v10, v[16:17], s[6:7] offset:16
	s_cbranch_execz .LBB14_3
	s_branch .LBB14_4
.LBB14_2:
                                        ; implicit-def: $vgpr0_vgpr1
.LBB14_3:
	s_waitcnt vmcnt(1)
	ds_bpermute_b32 v0, v11, v7
	ds_bpermute_b32 v1, v11, v9
	;; [unrolled: 1-line block ×4, first 2 shown]
	s_waitcnt vmcnt(0)
	ds_bpermute_b32 v15, v11, v5
	ds_bpermute_b32 v14, v11, v2
	s_waitcnt lgkmcnt(4)
	v_cndmask_b32_e64 v0, v0, v1, s[4:5]
	ds_bpermute_b32 v1, v11, v3
	s_waitcnt lgkmcnt(3)
	v_cndmask_b32_e64 v12, v12, v13, s[4:5]
	ds_bpermute_b32 v16, v11, v4
	ds_bpermute_b32 v17, v11, v3 offset:4
	s_waitcnt lgkmcnt(3)
	v_cndmask_b32_e64 v12, v12, v14, s[2:3]
	s_waitcnt lgkmcnt(2)
	v_cndmask_b32_e64 v0, v0, v1, s[2:3]
	v_cndmask_b32_e64 v13, v0, v15, s[0:1]
	ds_bpermute_b32 v0, v11, v7 offset:4
	ds_bpermute_b32 v1, v11, v9 offset:4
	;; [unrolled: 1-line block ×4, first 2 shown]
	s_waitcnt lgkmcnt(5)
	v_cndmask_b32_e64 v12, v12, v16, s[0:1]
	ds_bpermute_b32 v16, v11, v2 offset:4
	s_waitcnt lgkmcnt(3)
	v_cndmask_b32_e64 v0, v0, v1, s[4:5]
	ds_bpermute_b32 v1, v11, v5 offset:4
	v_cndmask_b32_e64 v0, v0, v17, s[2:3]
	s_waitcnt lgkmcnt(2)
	v_cndmask_b32_e64 v14, v14, v15, s[4:5]
	s_waitcnt lgkmcnt(1)
	v_cndmask_b32_e64 v14, v14, v16, s[2:3]
	ds_bpermute_b32 v16, v11, v4 offset:4
	s_waitcnt lgkmcnt(1)
	v_cndmask_b32_e64 v15, v0, v1, s[0:1]
	ds_bpermute_b32 v0, v11, v7 offset:8
	ds_bpermute_b32 v1, v11, v9 offset:8
	ds_bpermute_b32 v17, v11, v6 offset:8
	ds_bpermute_b32 v18, v11, v8 offset:8
	s_waitcnt lgkmcnt(4)
	v_cndmask_b32_e64 v14, v14, v16, s[0:1]
	ds_bpermute_b32 v19, v11, v2 offset:8
	s_waitcnt lgkmcnt(3)
	v_cndmask_b32_e64 v0, v0, v1, s[4:5]
	ds_bpermute_b32 v1, v11, v3 offset:8
	;; [unrolled: 3-line block ×3, first 2 shown]
	ds_bpermute_b32 v2, v11, v2 offset:12
	ds_bpermute_b32 v3, v11, v3 offset:12
	s_waitcnt lgkmcnt(3)
	v_cndmask_b32_e64 v0, v0, v1, s[2:3]
	ds_bpermute_b32 v1, v11, v7 offset:12
	ds_bpermute_b32 v7, v11, v9 offset:12
	s_waitcnt lgkmcnt(4)
	v_cndmask_b32_e64 v17, v0, v17, s[0:1]
	ds_bpermute_b32 v0, v11, v6 offset:12
	ds_bpermute_b32 v6, v11, v8 offset:12
	;; [unrolled: 1-line block ×5, first 2 shown]
	s_waitcnt lgkmcnt(5)
	v_cndmask_b32_e64 v1, v1, v7, s[4:5]
	s_waitcnt lgkmcnt(3)
	v_cndmask_b32_e64 v0, v0, v6, s[4:5]
	v_cndmask_b32_e64 v0, v0, v2, s[2:3]
	;; [unrolled: 1-line block ×4, first 2 shown]
	s_waitcnt lgkmcnt(1)
	v_cndmask_b32_e64 v1, v1, v5, s[0:1]
	s_waitcnt lgkmcnt(0)
	v_cndmask_b32_e64 v0, v0, v4, s[0:1]
	v_cndmask_b32_e64 v16, v16, v18, s[0:1]
	global_store_dwordx4 v10, v[12:15], s[6:7]
	global_store_dwordx2 v10, v[16:17], s[6:7] offset:16
.LBB14_4:
	global_store_dwordx2 v10, v[0:1], s[6:7] offset:24
	s_endpgm
	.section	.rodata,"a",@progbits
	.p2align	6, 0x0
	.amdhsa_kernel _Z20warp_exchange_kernelILj4ELj64EN6common25StripedToBlockedShuffleOpEdEvPT2_S3_b
		.amdhsa_group_segment_fixed_size 0
		.amdhsa_private_segment_fixed_size 0
		.amdhsa_kernarg_size 20
		.amdhsa_user_sgpr_count 2
		.amdhsa_user_sgpr_dispatch_ptr 0
		.amdhsa_user_sgpr_queue_ptr 0
		.amdhsa_user_sgpr_kernarg_segment_ptr 1
		.amdhsa_user_sgpr_dispatch_id 0
		.amdhsa_user_sgpr_kernarg_preload_length 0
		.amdhsa_user_sgpr_kernarg_preload_offset 0
		.amdhsa_user_sgpr_private_segment_size 0
		.amdhsa_uses_dynamic_stack 0
		.amdhsa_enable_private_segment 0
		.amdhsa_system_sgpr_workgroup_id_x 1
		.amdhsa_system_sgpr_workgroup_id_y 0
		.amdhsa_system_sgpr_workgroup_id_z 0
		.amdhsa_system_sgpr_workgroup_info 0
		.amdhsa_system_vgpr_workitem_id 0
		.amdhsa_next_free_vgpr 23
		.amdhsa_next_free_sgpr 8
		.amdhsa_accum_offset 24
		.amdhsa_reserve_vcc 0
		.amdhsa_float_round_mode_32 0
		.amdhsa_float_round_mode_16_64 0
		.amdhsa_float_denorm_mode_32 3
		.amdhsa_float_denorm_mode_16_64 3
		.amdhsa_dx10_clamp 1
		.amdhsa_ieee_mode 1
		.amdhsa_fp16_overflow 0
		.amdhsa_tg_split 0
		.amdhsa_exception_fp_ieee_invalid_op 0
		.amdhsa_exception_fp_denorm_src 0
		.amdhsa_exception_fp_ieee_div_zero 0
		.amdhsa_exception_fp_ieee_overflow 0
		.amdhsa_exception_fp_ieee_underflow 0
		.amdhsa_exception_fp_ieee_inexact 0
		.amdhsa_exception_int_div_zero 0
	.end_amdhsa_kernel
	.section	.text._Z20warp_exchange_kernelILj4ELj64EN6common25StripedToBlockedShuffleOpEdEvPT2_S3_b,"axG",@progbits,_Z20warp_exchange_kernelILj4ELj64EN6common25StripedToBlockedShuffleOpEdEvPT2_S3_b,comdat
.Lfunc_end14:
	.size	_Z20warp_exchange_kernelILj4ELj64EN6common25StripedToBlockedShuffleOpEdEvPT2_S3_b, .Lfunc_end14-_Z20warp_exchange_kernelILj4ELj64EN6common25StripedToBlockedShuffleOpEdEvPT2_S3_b
                                        ; -- End function
	.section	.AMDGPU.csdata,"",@progbits
; Kernel info:
; codeLenInByte = 1244
; NumSgprs: 14
; NumVgprs: 23
; NumAgprs: 0
; TotalNumVgprs: 23
; ScratchSize: 0
; MemoryBound: 0
; FloatMode: 240
; IeeeMode: 1
; LDSByteSize: 0 bytes/workgroup (compile time only)
; SGPRBlocks: 1
; VGPRBlocks: 2
; NumSGPRsForWavesPerEU: 14
; NumVGPRsForWavesPerEU: 23
; AccumOffset: 24
; Occupancy: 8
; WaveLimiterHint : 0
; COMPUTE_PGM_RSRC2:SCRATCH_EN: 0
; COMPUTE_PGM_RSRC2:USER_SGPR: 2
; COMPUTE_PGM_RSRC2:TRAP_HANDLER: 0
; COMPUTE_PGM_RSRC2:TGID_X_EN: 1
; COMPUTE_PGM_RSRC2:TGID_Y_EN: 0
; COMPUTE_PGM_RSRC2:TGID_Z_EN: 0
; COMPUTE_PGM_RSRC2:TIDIG_COMP_CNT: 0
; COMPUTE_PGM_RSRC3_GFX90A:ACCUM_OFFSET: 5
; COMPUTE_PGM_RSRC3_GFX90A:TG_SPLIT: 0
	.section	.text._Z20warp_exchange_kernelILj4ELj32EN6common25StripedToBlockedShuffleOpEfEvPT2_S3_b,"axG",@progbits,_Z20warp_exchange_kernelILj4ELj32EN6common25StripedToBlockedShuffleOpEfEvPT2_S3_b,comdat
	.protected	_Z20warp_exchange_kernelILj4ELj32EN6common25StripedToBlockedShuffleOpEfEvPT2_S3_b ; -- Begin function _Z20warp_exchange_kernelILj4ELj32EN6common25StripedToBlockedShuffleOpEfEvPT2_S3_b
	.globl	_Z20warp_exchange_kernelILj4ELj32EN6common25StripedToBlockedShuffleOpEfEvPT2_S3_b
	.p2align	8
	.type	_Z20warp_exchange_kernelILj4ELj32EN6common25StripedToBlockedShuffleOpEfEvPT2_S3_b,@function
_Z20warp_exchange_kernelILj4ELj32EN6common25StripedToBlockedShuffleOpEfEvPT2_S3_b: ; @_Z20warp_exchange_kernelILj4ELj32EN6common25StripedToBlockedShuffleOpEfEvPT2_S3_b
; %bb.0:
	s_load_dwordx4 s[4:7], s[0:1], 0x0
	s_load_dword s2, s[0:1], 0x10
	v_lshlrev_b32_e32 v1, 4, v0
	v_lshlrev_b32_e32 v0, 2, v0
	s_waitcnt lgkmcnt(0)
	global_load_dwordx4 v[2:5], v1, s[4:5]
	v_mbcnt_lo_u32_b32 v1, -1, 0
	v_mbcnt_hi_u32_b32 v1, -1, v1
	v_lshlrev_b32_e32 v6, 2, v1
	v_and_b32_e32 v7, 0x60, v1
	v_and_or_b32 v6, v6, 28, v7
	v_bfe_u32 v1, v1, 3, 2
	s_bitcmp0_b32 s2, 0
	v_cmp_eq_u32_e64 s[0:1], 3, v1
	v_cmp_eq_u32_e64 s[2:3], 2, v1
	;; [unrolled: 1-line block ×3, first 2 shown]
	v_lshlrev_b32_e32 v1, 2, v6
	v_or_b32_e32 v10, 4, v1
	s_cbranch_scc0 .LBB15_2
; %bb.1:
	s_waitcnt vmcnt(0)
	ds_bpermute_b32 v6, v1, v2
	ds_bpermute_b32 v7, v1, v3
	;; [unrolled: 1-line block ×6, first 2 shown]
	s_waitcnt lgkmcnt(4)
	v_cndmask_b32_e64 v6, v6, v7, s[4:5]
	ds_bpermute_b32 v7, v10, v3
	s_waitcnt lgkmcnt(4)
	v_cndmask_b32_e64 v6, v6, v8, s[2:3]
	ds_bpermute_b32 v8, v10, v4
	ds_bpermute_b32 v13, v1, v2 offset:8
	ds_bpermute_b32 v14, v1, v3 offset:8
	s_waitcnt lgkmcnt(3)
	v_cndmask_b32_e64 v7, v11, v7, s[4:5]
	v_cndmask_b32_e64 v6, v6, v9, s[0:1]
	s_waitcnt lgkmcnt(2)
	v_cndmask_b32_e64 v7, v7, v8, s[2:3]
	v_cndmask_b32_e64 v7, v7, v12, s[0:1]
	s_waitcnt lgkmcnt(0)
	v_cndmask_b32_e64 v8, v13, v14, s[4:5]
	ds_bpermute_b32 v9, v1, v4 offset:8
	ds_bpermute_b32 v12, v1, v2 offset:12
	;; [unrolled: 1-line block ×6, first 2 shown]
	s_waitcnt lgkmcnt(5)
	v_cndmask_b32_e64 v8, v8, v9, s[2:3]
	s_waitcnt lgkmcnt(3)
	v_cndmask_b32_e64 v9, v12, v13, s[4:5]
	;; [unrolled: 2-line block ×5, first 2 shown]
	s_cbranch_execz .LBB15_3
	s_branch .LBB15_4
.LBB15_2:
                                        ; implicit-def: $vgpr6_vgpr7_vgpr8_vgpr9
.LBB15_3:
	s_waitcnt vmcnt(0)
	ds_bpermute_b32 v6, v1, v2
	ds_bpermute_b32 v7, v1, v3
	;; [unrolled: 1-line block ×5, first 2 shown]
	ds_bpermute_b32 v12, v1, v2 offset:8
	s_waitcnt lgkmcnt(4)
	v_cndmask_b32_e64 v6, v6, v7, s[4:5]
	ds_bpermute_b32 v7, v10, v3
	s_waitcnt lgkmcnt(4)
	v_cndmask_b32_e64 v6, v6, v8, s[2:3]
	ds_bpermute_b32 v8, v10, v4
	ds_bpermute_b32 v10, v10, v5
	ds_bpermute_b32 v13, v1, v3 offset:8
	s_waitcnt lgkmcnt(3)
	v_cndmask_b32_e64 v7, v11, v7, s[4:5]
	ds_bpermute_b32 v2, v1, v2 offset:12
	ds_bpermute_b32 v3, v1, v3 offset:12
	v_cndmask_b32_e64 v6, v6, v9, s[0:1]
	s_waitcnt lgkmcnt(4)
	v_cndmask_b32_e64 v7, v7, v8, s[2:3]
	ds_bpermute_b32 v9, v1, v4 offset:8
	ds_bpermute_b32 v4, v1, v4 offset:12
	s_waitcnt lgkmcnt(5)
	v_cndmask_b32_e64 v7, v7, v10, s[0:1]
	ds_bpermute_b32 v10, v1, v5 offset:8
	ds_bpermute_b32 v1, v1, v5 offset:12
	s_waitcnt lgkmcnt(6)
	v_cndmask_b32_e64 v8, v12, v13, s[4:5]
	s_waitcnt lgkmcnt(4)
	v_cndmask_b32_e64 v2, v2, v3, s[4:5]
	;; [unrolled: 2-line block ×6, first 2 shown]
.LBB15_4:
	v_lshlrev_b32_e32 v0, 2, v0
	global_store_dwordx4 v0, v[6:9], s[6:7]
	s_endpgm
	.section	.rodata,"a",@progbits
	.p2align	6, 0x0
	.amdhsa_kernel _Z20warp_exchange_kernelILj4ELj32EN6common25StripedToBlockedShuffleOpEfEvPT2_S3_b
		.amdhsa_group_segment_fixed_size 0
		.amdhsa_private_segment_fixed_size 0
		.amdhsa_kernarg_size 20
		.amdhsa_user_sgpr_count 2
		.amdhsa_user_sgpr_dispatch_ptr 0
		.amdhsa_user_sgpr_queue_ptr 0
		.amdhsa_user_sgpr_kernarg_segment_ptr 1
		.amdhsa_user_sgpr_dispatch_id 0
		.amdhsa_user_sgpr_kernarg_preload_length 0
		.amdhsa_user_sgpr_kernarg_preload_offset 0
		.amdhsa_user_sgpr_private_segment_size 0
		.amdhsa_uses_dynamic_stack 0
		.amdhsa_enable_private_segment 0
		.amdhsa_system_sgpr_workgroup_id_x 1
		.amdhsa_system_sgpr_workgroup_id_y 0
		.amdhsa_system_sgpr_workgroup_id_z 0
		.amdhsa_system_sgpr_workgroup_info 0
		.amdhsa_system_vgpr_workitem_id 0
		.amdhsa_next_free_vgpr 16
		.amdhsa_next_free_sgpr 8
		.amdhsa_accum_offset 16
		.amdhsa_reserve_vcc 0
		.amdhsa_float_round_mode_32 0
		.amdhsa_float_round_mode_16_64 0
		.amdhsa_float_denorm_mode_32 3
		.amdhsa_float_denorm_mode_16_64 3
		.amdhsa_dx10_clamp 1
		.amdhsa_ieee_mode 1
		.amdhsa_fp16_overflow 0
		.amdhsa_tg_split 0
		.amdhsa_exception_fp_ieee_invalid_op 0
		.amdhsa_exception_fp_denorm_src 0
		.amdhsa_exception_fp_ieee_div_zero 0
		.amdhsa_exception_fp_ieee_overflow 0
		.amdhsa_exception_fp_ieee_underflow 0
		.amdhsa_exception_fp_ieee_inexact 0
		.amdhsa_exception_int_div_zero 0
	.end_amdhsa_kernel
	.section	.text._Z20warp_exchange_kernelILj4ELj32EN6common25StripedToBlockedShuffleOpEfEvPT2_S3_b,"axG",@progbits,_Z20warp_exchange_kernelILj4ELj32EN6common25StripedToBlockedShuffleOpEfEvPT2_S3_b,comdat
.Lfunc_end15:
	.size	_Z20warp_exchange_kernelILj4ELj32EN6common25StripedToBlockedShuffleOpEfEvPT2_S3_b, .Lfunc_end15-_Z20warp_exchange_kernelILj4ELj32EN6common25StripedToBlockedShuffleOpEfEvPT2_S3_b
                                        ; -- End function
	.section	.AMDGPU.csdata,"",@progbits
; Kernel info:
; codeLenInByte = 684
; NumSgprs: 14
; NumVgprs: 16
; NumAgprs: 0
; TotalNumVgprs: 16
; ScratchSize: 0
; MemoryBound: 0
; FloatMode: 240
; IeeeMode: 1
; LDSByteSize: 0 bytes/workgroup (compile time only)
; SGPRBlocks: 1
; VGPRBlocks: 1
; NumSGPRsForWavesPerEU: 14
; NumVGPRsForWavesPerEU: 16
; AccumOffset: 16
; Occupancy: 8
; WaveLimiterHint : 0
; COMPUTE_PGM_RSRC2:SCRATCH_EN: 0
; COMPUTE_PGM_RSRC2:USER_SGPR: 2
; COMPUTE_PGM_RSRC2:TRAP_HANDLER: 0
; COMPUTE_PGM_RSRC2:TGID_X_EN: 1
; COMPUTE_PGM_RSRC2:TGID_Y_EN: 0
; COMPUTE_PGM_RSRC2:TGID_Z_EN: 0
; COMPUTE_PGM_RSRC2:TIDIG_COMP_CNT: 0
; COMPUTE_PGM_RSRC3_GFX90A:ACCUM_OFFSET: 3
; COMPUTE_PGM_RSRC3_GFX90A:TG_SPLIT: 0
	.section	.text._Z20warp_exchange_kernelILj4ELj8EN6common25StripedToBlockedShuffleOpElEvPT2_S3_b,"axG",@progbits,_Z20warp_exchange_kernelILj4ELj8EN6common25StripedToBlockedShuffleOpElEvPT2_S3_b,comdat
	.protected	_Z20warp_exchange_kernelILj4ELj8EN6common25StripedToBlockedShuffleOpElEvPT2_S3_b ; -- Begin function _Z20warp_exchange_kernelILj4ELj8EN6common25StripedToBlockedShuffleOpElEvPT2_S3_b
	.globl	_Z20warp_exchange_kernelILj4ELj8EN6common25StripedToBlockedShuffleOpElEvPT2_S3_b
	.p2align	8
	.type	_Z20warp_exchange_kernelILj4ELj8EN6common25StripedToBlockedShuffleOpElEvPT2_S3_b,@function
_Z20warp_exchange_kernelILj4ELj8EN6common25StripedToBlockedShuffleOpElEvPT2_S3_b: ; @_Z20warp_exchange_kernelILj4ELj8EN6common25StripedToBlockedShuffleOpElEvPT2_S3_b
; %bb.0:
	s_load_dwordx4 s[4:7], s[2:3], 0x0
	s_load_dword s8, s[2:3], 0x10
	v_and_b32_e32 v10, 0x3ff, v0
	v_lshlrev_b32_e32 v1, 5, v10
	v_mbcnt_lo_u32_b32 v11, -1, 0
	s_waitcnt lgkmcnt(0)
	global_load_dwordx4 v[6:9], v1, s[4:5] offset:16
	global_load_dwordx4 v[2:5], v1, s[4:5]
	v_mbcnt_hi_u32_b32 v11, -1, v11
	v_lshlrev_b32_e32 v12, 2, v11
	v_bfe_u32 v23, v11, 2, 1
	s_bitcmp0_b32 s8, 0
	v_lshlrev_b32_e32 v1, 2, v10
	v_xor_b32_e32 v18, 16, v12
	v_xor_b32_e32 v22, 1, v23
	v_xor_b32_e32 v21, 3, v23
	v_and_b32_e32 v19, 3, v11
	v_add_u32_e32 v20, -1, v11
	s_cbranch_scc0 .LBB16_2
; %bb.1:
	s_load_dwordx2 s[0:1], s[0:1], 0x4
	v_bfe_u32 v11, v0, 10, 10
	v_bfe_u32 v0, v0, 20, 10
	s_waitcnt vmcnt(1)
	ds_bpermute_b32 v12, v18, v6
	ds_bpermute_b32 v13, v18, v7
	s_waitcnt lgkmcnt(0)
	s_lshr_b32 s0, s0, 16
	s_mul_i32 s0, s0, s1
	v_mul_lo_u32 v10, s0, v10
	v_mad_u32_u24 v10, v11, s1, v10
	v_add_lshl_u32 v0, v10, v0, 5
	ds_bpermute_b32 v10, v18, v8
	ds_bpermute_b32 v11, v18, v9
	v_lshl_or_b32 v14, v23, 3, v0
	s_waitcnt vmcnt(0)
	ds_write_b128 v0, v[2:5]
	ds_write_b128 v0, v[6:9] offset:16
	ds_write2_b64 v14, v[2:3], v[4:5] offset1:2
	v_lshl_or_b32 v14, v22, 3, v0
	ds_write_b64 v14, v[12:13]
	v_lshl_or_b32 v12, v21, 3, v0
	s_waitcnt lgkmcnt(4)
	ds_write_b64 v12, v[10:11]
	ds_read2_b64 v[10:13], v0 offset0:1 offset1:2
	ds_read2_b64 v[14:17], v0 offset1:3
	s_waitcnt lgkmcnt(1)
	ds_bpermute_b32 v0, v18, v10
	ds_bpermute_b32 v11, v18, v11
	s_waitcnt lgkmcnt(2)
	ds_bpermute_b32 v16, v18, v16
	ds_bpermute_b32 v17, v18, v17
	v_mov_b32_dpp v12, v12 quad_perm:[2,3,0,1] row_mask:0xf bank_mask:0xf
	s_waitcnt lgkmcnt(3)
	v_mov_b32_dpp v10, v0 quad_perm:[3,0,1,2] row_mask:0xf bank_mask:0xf
	v_lshlrev_b32_e32 v0, 3, v19
	scratch_store_dwordx2 v0, v[14:15], off
	v_and_b32_e32 v0, 3, v20
	s_waitcnt lgkmcnt(2)
	v_mov_b32_dpp v11, v11 quad_perm:[3,0,1,2] row_mask:0xf bank_mask:0xf
	v_lshlrev_b32_e32 v0, 3, v0
	scratch_store_dwordx2 v0, v[10:11], off
	v_xor_b32_e32 v0, 2, v19
	v_lshlrev_b32_e32 v10, 3, v0
	v_add_u32_e32 v0, -1, v0
	v_and_b32_e32 v0, 3, v0
	v_mov_b32_dpp v13, v13 quad_perm:[2,3,0,1] row_mask:0xf bank_mask:0xf
	s_waitcnt lgkmcnt(1)
	v_mov_b32_dpp v16, v16 quad_perm:[1,2,3,0] row_mask:0xf bank_mask:0xf
	s_waitcnt lgkmcnt(0)
	v_mov_b32_dpp v17, v17 quad_perm:[1,2,3,0] row_mask:0xf bank_mask:0xf
	v_lshlrev_b32_e32 v0, 3, v0
	scratch_store_dwordx2 v10, v[12:13], off
	scratch_store_dwordx2 v0, v[16:17], off
	scratch_load_dwordx4 v[10:13], off, off offset:8
	s_nop 0
	scratch_load_dwordx2 v[24:25], off, off offset:24
	scratch_load_dwordx2 v[14:15], off, off
	s_waitcnt vmcnt(2)
	v_mov_b32_dpp v16, v10 quad_perm:[1,2,3,0] row_mask:0xf bank_mask:0xf
	v_mov_b32_dpp v17, v11 quad_perm:[1,2,3,0] row_mask:0xf bank_mask:0xf
	;; [unrolled: 1-line block ×4, first 2 shown]
	s_waitcnt vmcnt(1)
	v_mov_b32_dpp v12, v24 quad_perm:[3,0,1,2] row_mask:0xf bank_mask:0xf
	v_mov_b32_dpp v13, v25 quad_perm:[3,0,1,2] row_mask:0xf bank_mask:0xf
	s_cbranch_execz .LBB16_3
	s_branch .LBB16_4
.LBB16_2:
                                        ; implicit-def: $vgpr12_vgpr13
                                        ; implicit-def: $vgpr16_vgpr17
.LBB16_3:
	s_waitcnt vmcnt(0)
	scratch_store_dwordx4 off, v[2:5], off
	scratch_store_dwordx4 off, v[6:9], off offset:16
	ds_bpermute_b32 v6, v18, v6
	ds_bpermute_b32 v7, v18, v7
	;; [unrolled: 1-line block ×4, first 2 shown]
	v_mov_b32_e32 v0, 0
	v_lshl_or_b32 v10, v23, 3, v0
	v_lshl_or_b32 v0, v22, 3, v0
	scratch_store_dwordx2 v10, v[2:3], off
	scratch_store_dwordx2 v10, v[4:5], off offset:16
	s_waitcnt lgkmcnt(2)
	scratch_store_dwordx2 v0, v[6:7], off
	v_lshlrev_b32_e32 v0, 3, v21
	s_waitcnt lgkmcnt(0)
	scratch_store_dwordx2 v0, v[8:9], off
	scratch_load_dwordx4 v[2:5], off, off offset:8
	scratch_load_dwordx2 v[6:7], off, off offset:24
	s_nop 0
	scratch_load_dwordx2 v[8:9], off, off
	v_xor_b32_e32 v11, 2, v19
	v_and_b32_e32 v10, 3, v20
	v_lshlrev_b32_e32 v12, 3, v11
	v_add_u32_e32 v11, -1, v11
	v_lshlrev_b32_e32 v0, 3, v19
	v_lshlrev_b32_e32 v10, 3, v10
	v_and_b32_e32 v11, 3, v11
	v_lshlrev_b32_e32 v11, 3, v11
	s_waitcnt vmcnt(2)
	ds_bpermute_b32 v13, v18, v2
	ds_bpermute_b32 v14, v18, v3
	s_waitcnt vmcnt(1)
	ds_bpermute_b32 v6, v18, v6
	ds_bpermute_b32 v7, v18, v7
	v_mov_b32_dpp v2, v4 quad_perm:[2,3,0,1] row_mask:0xf bank_mask:0xf
	v_mov_b32_dpp v3, v5 quad_perm:[2,3,0,1] row_mask:0xf bank_mask:0xf
	s_waitcnt lgkmcnt(3)
	v_mov_b32_dpp v4, v13 quad_perm:[3,0,1,2] row_mask:0xf bank_mask:0xf
	s_waitcnt lgkmcnt(2)
	v_mov_b32_dpp v5, v14 quad_perm:[3,0,1,2] row_mask:0xf bank_mask:0xf
	s_waitcnt vmcnt(0)
	scratch_store_dwordx2 v0, v[8:9], off offset:32
	s_waitcnt lgkmcnt(1)
	v_mov_b32_dpp v6, v6 quad_perm:[1,2,3,0] row_mask:0xf bank_mask:0xf
	s_waitcnt lgkmcnt(0)
	v_mov_b32_dpp v7, v7 quad_perm:[1,2,3,0] row_mask:0xf bank_mask:0xf
	scratch_store_dwordx2 v10, v[4:5], off offset:32
	scratch_store_dwordx2 v12, v[2:3], off offset:32
	;; [unrolled: 1-line block ×3, first 2 shown]
	scratch_load_dwordx4 v[2:5], off, off offset:40
	s_nop 0
	scratch_load_dwordx2 v[6:7], off, off offset:56
	scratch_load_dwordx2 v[14:15], off, off offset:32
	s_waitcnt vmcnt(2)
	v_mov_b32_dpp v16, v2 quad_perm:[1,2,3,0] row_mask:0xf bank_mask:0xf
	v_mov_b32_dpp v17, v3 quad_perm:[1,2,3,0] row_mask:0xf bank_mask:0xf
	;; [unrolled: 1-line block ×4, first 2 shown]
	s_waitcnt vmcnt(1)
	v_mov_b32_dpp v12, v6 quad_perm:[3,0,1,2] row_mask:0xf bank_mask:0xf
	v_mov_b32_dpp v13, v7 quad_perm:[3,0,1,2] row_mask:0xf bank_mask:0xf
.LBB16_4:
	v_lshlrev_b32_e32 v0, 3, v1
	s_waitcnt vmcnt(0)
	global_store_dwordx4 v0, v[14:17], s[6:7]
	global_store_dwordx4 v0, v[10:13], s[6:7] offset:16
	s_endpgm
	.section	.rodata,"a",@progbits
	.p2align	6, 0x0
	.amdhsa_kernel _Z20warp_exchange_kernelILj4ELj8EN6common25StripedToBlockedShuffleOpElEvPT2_S3_b
		.amdhsa_group_segment_fixed_size 32768
		.amdhsa_private_segment_fixed_size 80
		.amdhsa_kernarg_size 20
		.amdhsa_user_sgpr_count 4
		.amdhsa_user_sgpr_dispatch_ptr 1
		.amdhsa_user_sgpr_queue_ptr 0
		.amdhsa_user_sgpr_kernarg_segment_ptr 1
		.amdhsa_user_sgpr_dispatch_id 0
		.amdhsa_user_sgpr_kernarg_preload_length 0
		.amdhsa_user_sgpr_kernarg_preload_offset 0
		.amdhsa_user_sgpr_private_segment_size 0
		.amdhsa_uses_dynamic_stack 0
		.amdhsa_enable_private_segment 1
		.amdhsa_system_sgpr_workgroup_id_x 1
		.amdhsa_system_sgpr_workgroup_id_y 0
		.amdhsa_system_sgpr_workgroup_id_z 0
		.amdhsa_system_sgpr_workgroup_info 0
		.amdhsa_system_vgpr_workitem_id 2
		.amdhsa_next_free_vgpr 26
		.amdhsa_next_free_sgpr 9
		.amdhsa_accum_offset 28
		.amdhsa_reserve_vcc 0
		.amdhsa_float_round_mode_32 0
		.amdhsa_float_round_mode_16_64 0
		.amdhsa_float_denorm_mode_32 3
		.amdhsa_float_denorm_mode_16_64 3
		.amdhsa_dx10_clamp 1
		.amdhsa_ieee_mode 1
		.amdhsa_fp16_overflow 0
		.amdhsa_tg_split 0
		.amdhsa_exception_fp_ieee_invalid_op 0
		.amdhsa_exception_fp_denorm_src 0
		.amdhsa_exception_fp_ieee_div_zero 0
		.amdhsa_exception_fp_ieee_overflow 0
		.amdhsa_exception_fp_ieee_underflow 0
		.amdhsa_exception_fp_ieee_inexact 0
		.amdhsa_exception_int_div_zero 0
	.end_amdhsa_kernel
	.section	.text._Z20warp_exchange_kernelILj4ELj8EN6common25StripedToBlockedShuffleOpElEvPT2_S3_b,"axG",@progbits,_Z20warp_exchange_kernelILj4ELj8EN6common25StripedToBlockedShuffleOpElEvPT2_S3_b,comdat
.Lfunc_end16:
	.size	_Z20warp_exchange_kernelILj4ELj8EN6common25StripedToBlockedShuffleOpElEvPT2_S3_b, .Lfunc_end16-_Z20warp_exchange_kernelILj4ELj8EN6common25StripedToBlockedShuffleOpElEvPT2_S3_b
                                        ; -- End function
	.section	.AMDGPU.csdata,"",@progbits
; Kernel info:
; codeLenInByte = 980
; NumSgprs: 15
; NumVgprs: 26
; NumAgprs: 0
; TotalNumVgprs: 26
; ScratchSize: 80
; MemoryBound: 0
; FloatMode: 240
; IeeeMode: 1
; LDSByteSize: 32768 bytes/workgroup (compile time only)
; SGPRBlocks: 1
; VGPRBlocks: 3
; NumSGPRsForWavesPerEU: 15
; NumVGPRsForWavesPerEU: 26
; AccumOffset: 28
; Occupancy: 8
; WaveLimiterHint : 0
; COMPUTE_PGM_RSRC2:SCRATCH_EN: 1
; COMPUTE_PGM_RSRC2:USER_SGPR: 4
; COMPUTE_PGM_RSRC2:TRAP_HANDLER: 0
; COMPUTE_PGM_RSRC2:TGID_X_EN: 1
; COMPUTE_PGM_RSRC2:TGID_Y_EN: 0
; COMPUTE_PGM_RSRC2:TGID_Z_EN: 0
; COMPUTE_PGM_RSRC2:TIDIG_COMP_CNT: 2
; COMPUTE_PGM_RSRC3_GFX90A:ACCUM_OFFSET: 6
; COMPUTE_PGM_RSRC3_GFX90A:TG_SPLIT: 0
	.section	.text._Z20warp_exchange_kernelILj2ELj32EN6common25StripedToBlockedShuffleOpEsEvPT2_S3_b,"axG",@progbits,_Z20warp_exchange_kernelILj2ELj32EN6common25StripedToBlockedShuffleOpEsEvPT2_S3_b,comdat
	.protected	_Z20warp_exchange_kernelILj2ELj32EN6common25StripedToBlockedShuffleOpEsEvPT2_S3_b ; -- Begin function _Z20warp_exchange_kernelILj2ELj32EN6common25StripedToBlockedShuffleOpEsEvPT2_S3_b
	.globl	_Z20warp_exchange_kernelILj2ELj32EN6common25StripedToBlockedShuffleOpEsEvPT2_S3_b
	.p2align	8
	.type	_Z20warp_exchange_kernelILj2ELj32EN6common25StripedToBlockedShuffleOpEsEvPT2_S3_b,@function
_Z20warp_exchange_kernelILj2ELj32EN6common25StripedToBlockedShuffleOpEsEvPT2_S3_b: ; @_Z20warp_exchange_kernelILj2ELj32EN6common25StripedToBlockedShuffleOpEsEvPT2_S3_b
; %bb.0:
	s_load_dwordx4 s[4:7], s[0:1], 0x0
	s_load_dword s3, s[0:1], 0x10
	v_lshlrev_b32_e32 v1, 2, v0
	s_mov_b32 s2, 0xffff
	v_lshlrev_b32_e32 v0, 1, v0
	s_waitcnt lgkmcnt(0)
	global_load_dword v2, v1, s[4:5]
	v_mbcnt_lo_u32_b32 v1, -1, 0
	v_mbcnt_hi_u32_b32 v1, -1, v1
	v_and_b32_e32 v3, 31, v1
	v_lshlrev_b32_e32 v4, 1, v1
	v_and_b32_e32 v1, 0x60, v1
	v_and_or_b32 v1, v4, 30, v1
	v_lshlrev_b32_e32 v4, 2, v1
	v_cmp_gt_u32_e64 s[0:1], 16, v3
	s_bitcmp0_b32 s3, 0
	s_waitcnt vmcnt(0)
	v_lshrrev_b32_e32 v1, 16, v2
	v_and_b32_e32 v3, 0xffff, v2
	v_or_b32_e32 v2, 4, v4
	s_cbranch_scc0 .LBB17_2
; %bb.1:
	ds_bpermute_b32 v6, v4, v3
	ds_bpermute_b32 v7, v4, v1
	;; [unrolled: 1-line block ×3, first 2 shown]
	s_mov_b32 s3, 0x5040100
	ds_bpermute_b32 v5, v2, v1
	s_waitcnt lgkmcnt(2)
	v_bfi_b32 v7, s2, v7, v6
	v_cndmask_b32_e64 v6, v7, v6, s[0:1]
	s_waitcnt lgkmcnt(1)
	v_perm_b32 v6, v8, v6, s3
	v_cndmask_b32_e64 v7, v7, v6, s[0:1]
	s_cbranch_execz .LBB17_3
	s_branch .LBB17_4
.LBB17_2:
                                        ; implicit-def: $vgpr6
                                        ; implicit-def: $vgpr7
                                        ; implicit-def: $vgpr5
.LBB17_3:
	ds_bpermute_b32 v6, v4, v3
	ds_bpermute_b32 v4, v4, v1
	ds_bpermute_b32 v3, v2, v3
	s_mov_b32 s2, 0xffff
	s_waitcnt lgkmcnt(3)
	ds_bpermute_b32 v5, v2, v1
	s_waitcnt lgkmcnt(2)
	v_bfi_b32 v1, s2, v4, v6
	v_cndmask_b32_e64 v2, v1, v6, s[0:1]
	s_mov_b32 s2, 0x5040100
	s_waitcnt lgkmcnt(1)
	v_perm_b32 v6, v3, v2, s2
	v_cndmask_b32_e64 v7, v1, v6, s[0:1]
.LBB17_4:
	s_mov_b32 s2, 0x5040100
	s_waitcnt lgkmcnt(0)
	v_perm_b32 v1, v5, v7, s2
	v_lshlrev_b32_e32 v0, 1, v0
	v_cndmask_b32_e64 v1, v1, v6, s[0:1]
	global_store_dword v0, v1, s[6:7]
	s_endpgm
	.section	.rodata,"a",@progbits
	.p2align	6, 0x0
	.amdhsa_kernel _Z20warp_exchange_kernelILj2ELj32EN6common25StripedToBlockedShuffleOpEsEvPT2_S3_b
		.amdhsa_group_segment_fixed_size 0
		.amdhsa_private_segment_fixed_size 0
		.amdhsa_kernarg_size 20
		.amdhsa_user_sgpr_count 2
		.amdhsa_user_sgpr_dispatch_ptr 0
		.amdhsa_user_sgpr_queue_ptr 0
		.amdhsa_user_sgpr_kernarg_segment_ptr 1
		.amdhsa_user_sgpr_dispatch_id 0
		.amdhsa_user_sgpr_kernarg_preload_length 0
		.amdhsa_user_sgpr_kernarg_preload_offset 0
		.amdhsa_user_sgpr_private_segment_size 0
		.amdhsa_uses_dynamic_stack 0
		.amdhsa_enable_private_segment 0
		.amdhsa_system_sgpr_workgroup_id_x 1
		.amdhsa_system_sgpr_workgroup_id_y 0
		.amdhsa_system_sgpr_workgroup_id_z 0
		.amdhsa_system_sgpr_workgroup_info 0
		.amdhsa_system_vgpr_workitem_id 0
		.amdhsa_next_free_vgpr 9
		.amdhsa_next_free_sgpr 8
		.amdhsa_accum_offset 12
		.amdhsa_reserve_vcc 0
		.amdhsa_float_round_mode_32 0
		.amdhsa_float_round_mode_16_64 0
		.amdhsa_float_denorm_mode_32 3
		.amdhsa_float_denorm_mode_16_64 3
		.amdhsa_dx10_clamp 1
		.amdhsa_ieee_mode 1
		.amdhsa_fp16_overflow 0
		.amdhsa_tg_split 0
		.amdhsa_exception_fp_ieee_invalid_op 0
		.amdhsa_exception_fp_denorm_src 0
		.amdhsa_exception_fp_ieee_div_zero 0
		.amdhsa_exception_fp_ieee_overflow 0
		.amdhsa_exception_fp_ieee_underflow 0
		.amdhsa_exception_fp_ieee_inexact 0
		.amdhsa_exception_int_div_zero 0
	.end_amdhsa_kernel
	.section	.text._Z20warp_exchange_kernelILj2ELj32EN6common25StripedToBlockedShuffleOpEsEvPT2_S3_b,"axG",@progbits,_Z20warp_exchange_kernelILj2ELj32EN6common25StripedToBlockedShuffleOpEsEvPT2_S3_b,comdat
.Lfunc_end17:
	.size	_Z20warp_exchange_kernelILj2ELj32EN6common25StripedToBlockedShuffleOpEsEvPT2_S3_b, .Lfunc_end17-_Z20warp_exchange_kernelILj2ELj32EN6common25StripedToBlockedShuffleOpEsEvPT2_S3_b
                                        ; -- End function
	.section	.AMDGPU.csdata,"",@progbits
; Kernel info:
; codeLenInByte = 348
; NumSgprs: 14
; NumVgprs: 9
; NumAgprs: 0
; TotalNumVgprs: 9
; ScratchSize: 0
; MemoryBound: 0
; FloatMode: 240
; IeeeMode: 1
; LDSByteSize: 0 bytes/workgroup (compile time only)
; SGPRBlocks: 1
; VGPRBlocks: 1
; NumSGPRsForWavesPerEU: 14
; NumVGPRsForWavesPerEU: 9
; AccumOffset: 12
; Occupancy: 8
; WaveLimiterHint : 0
; COMPUTE_PGM_RSRC2:SCRATCH_EN: 0
; COMPUTE_PGM_RSRC2:USER_SGPR: 2
; COMPUTE_PGM_RSRC2:TRAP_HANDLER: 0
; COMPUTE_PGM_RSRC2:TGID_X_EN: 1
; COMPUTE_PGM_RSRC2:TGID_Y_EN: 0
; COMPUTE_PGM_RSRC2:TGID_Z_EN: 0
; COMPUTE_PGM_RSRC2:TIDIG_COMP_CNT: 0
; COMPUTE_PGM_RSRC3_GFX90A:ACCUM_OFFSET: 2
; COMPUTE_PGM_RSRC3_GFX90A:TG_SPLIT: 0
	.section	.text._Z20warp_exchange_kernelILj4ELj16EN6common25StripedToBlockedShuffleOpEaEvPT2_S3_b,"axG",@progbits,_Z20warp_exchange_kernelILj4ELj16EN6common25StripedToBlockedShuffleOpEaEvPT2_S3_b,comdat
	.protected	_Z20warp_exchange_kernelILj4ELj16EN6common25StripedToBlockedShuffleOpEaEvPT2_S3_b ; -- Begin function _Z20warp_exchange_kernelILj4ELj16EN6common25StripedToBlockedShuffleOpEaEvPT2_S3_b
	.globl	_Z20warp_exchange_kernelILj4ELj16EN6common25StripedToBlockedShuffleOpEaEvPT2_S3_b
	.p2align	8
	.type	_Z20warp_exchange_kernelILj4ELj16EN6common25StripedToBlockedShuffleOpEaEvPT2_S3_b,@function
_Z20warp_exchange_kernelILj4ELj16EN6common25StripedToBlockedShuffleOpEaEvPT2_S3_b: ; @_Z20warp_exchange_kernelILj4ELj16EN6common25StripedToBlockedShuffleOpEaEvPT2_S3_b
; %bb.0:
	s_load_dwordx4 s[4:7], s[0:1], 0x0
	s_load_dword s2, s[0:1], 0x10
	v_lshlrev_b32_e32 v0, 2, v0
	v_mbcnt_lo_u32_b32 v2, -1, 0
	v_mbcnt_hi_u32_b32 v14, -1, v2
	s_waitcnt lgkmcnt(0)
	global_load_dword v5, v0, s[4:5]
	v_and_b32_e32 v4, 0x70, v14
	v_add_u32_e32 v3, 12, v14
	v_lshlrev_b32_e32 v6, 2, v14
	v_add_u32_e32 v7, 4, v14
	v_bfe_u32 v9, v14, 2, 2
	v_lshrrev_b32_e32 v8, 2, v14
	v_and_or_b32 v10, v3, 15, v4
	v_xor_b32_e32 v3, 32, v6
	v_and_or_b32 v6, v7, 15, v4
	v_lshlrev_b32_e32 v7, 3, v9
	v_xor_b32_e32 v9, 2, v9
	s_mov_b32 s1, 0x4040404
	s_movk_i32 s0, 0xff
	v_add_u32_e32 v8, -1, v8
	v_add_u32_e32 v11, -1, v9
	v_lshlrev_b32_e32 v4, 2, v10
	v_lshlrev_b32_e64 v10, v7, s0
	v_and_b32_e32 v7, 3, v8
	v_and_b32_e32 v11, 3, v11
	v_mov_b32_e32 v1, 0
	v_and_b32_e32 v2, 3, v14
	v_lshlrev_b32_e32 v6, 2, v6
	v_lshlrev_b32_e32 v8, 3, v9
	;; [unrolled: 1-line block ×3, first 2 shown]
	s_bitcmp0_b32 s2, 0
	v_lshlrev_b32_e32 v7, 3, v11
	s_waitcnt vmcnt(0)
	v_perm_b32 v15, v5, v5, s1
	v_lshrrev_b32_e32 v11, 24, v5
	v_bfe_u32 v12, v5, 8, 8
	v_bfe_u32 v13, v5, 16, 8
	v_bfi_b32 v10, v10, v15, v5
	v_add_u32_e32 v5, -1, v14
	s_cbranch_scc0 .LBB18_2
; %bb.1:
	ds_bpermute_b32 v14, v4, v12
	ds_bpermute_b32 v15, v3, v13
	;; [unrolled: 1-line block ×3, first 2 shown]
	v_lshlrev_b32_e64 v17, v9, s0
	s_waitcnt lgkmcnt(2)
	v_lshlrev_b16_e32 v18, 8, v14
	v_or_b32_sdwa v14, v14, v18 dst_sel:DWORD dst_unused:UNUSED_PAD src0_sel:BYTE_0 src1_sel:DWORD
	s_waitcnt lgkmcnt(1)
	v_lshlrev_b16_e32 v19, 8, v15
	v_lshlrev_b32_e32 v18, 16, v14
	v_or_b32_sdwa v14, v14, v18 dst_sel:DWORD dst_unused:UNUSED_PAD src0_sel:WORD_0 src1_sel:DWORD
	v_or_b32_sdwa v15, v15, v19 dst_sel:DWORD dst_unused:UNUSED_PAD src0_sel:BYTE_0 src1_sel:DWORD
	v_bfi_b32 v14, v17, v14, v10
	v_lshlrev_b32_e32 v17, 16, v15
	v_or_b32_sdwa v15, v15, v17 dst_sel:DWORD dst_unused:UNUSED_PAD src0_sel:WORD_0 src1_sel:DWORD
	v_lshlrev_b32_e64 v17, v8, s0
	v_bfi_b32 v14, v17, v15, v14
	s_waitcnt lgkmcnt(0)
	v_lshlrev_b16_e32 v15, 8, v16
	v_or_b32_sdwa v15, v16, v15 dst_sel:DWORD dst_unused:UNUSED_PAD src0_sel:BYTE_0 src1_sel:DWORD
	v_lshlrev_b32_e32 v16, 16, v15
	v_or_b32_sdwa v15, v15, v16 dst_sel:DWORD dst_unused:UNUSED_PAD src0_sel:WORD_0 src1_sel:DWORD
	v_lshlrev_b32_e64 v16, v7, s0
	v_bfi_b32 v14, v16, v15, v14
	v_bfe_u32 v15, v14, 8, 8
	ds_bpermute_b32 v15, v6, v15
	v_bfe_u32 v16, v14, 16, 8
	v_lshlrev_b16_e32 v18, 8, v14
	ds_bpermute_b32 v16, v3, v16
	v_lshrrev_b32_e32 v17, 24, v14
	v_or_b32_sdwa v14, v14, v18 dst_sel:DWORD dst_unused:UNUSED_PAD src0_sel:BYTE_0 src1_sel:DWORD
	s_waitcnt lgkmcnt(1)
	v_and_b32_e32 v15, 0xff, v15
	v_lshlrev_b32_e32 v18, 16, v14
	v_or_b32_sdwa v14, v14, v18 dst_sel:DWORD dst_unused:UNUSED_PAD src0_sel:WORD_0 src1_sel:DWORD
	v_mov_b32_dpp v15, v15 quad_perm:[3,0,1,2] row_mask:0xf bank_mask:0xf
	v_lshlrev_b32_e32 v18, 3, v2
	v_lshlrev_b32_e64 v18, v18, s0
	v_lshlrev_b16_e32 v19, 8, v15
	v_and_b32_e32 v14, v18, v14
	v_and_b32_e32 v18, 3, v5
	v_or_b32_sdwa v15, v15, v19 dst_sel:DWORD dst_unused:UNUSED_PAD src0_sel:BYTE_0 src1_sel:DWORD
	ds_bpermute_b32 v17, v4, v17
	s_waitcnt lgkmcnt(1)
	v_and_b32_e32 v16, 0xff, v16
	v_lshlrev_b32_e32 v19, 16, v15
	v_lshlrev_b32_e32 v18, 3, v18
	v_mov_b32_dpp v16, v16 quad_perm:[2,3,0,1] row_mask:0xf bank_mask:0xf
	v_or_b32_sdwa v15, v15, v19 dst_sel:DWORD dst_unused:UNUSED_PAD src0_sel:WORD_0 src1_sel:DWORD
	v_lshlrev_b32_e64 v18, v18, s0
	v_bfi_b32 v14, v18, v15, v14
	v_lshlrev_b16_e32 v18, 8, v16
	v_or_b32_sdwa v16, v16, v18 dst_sel:DWORD dst_unused:UNUSED_PAD src0_sel:BYTE_0 src1_sel:DWORD
	v_xor_b32_e32 v15, 2, v2
	v_lshlrev_b32_e32 v18, 16, v16
	s_waitcnt lgkmcnt(0)
	v_and_b32_e32 v17, 0xff, v17
	v_or_b32_sdwa v16, v16, v18 dst_sel:DWORD dst_unused:UNUSED_PAD src0_sel:WORD_0 src1_sel:DWORD
	v_lshlrev_b32_e32 v18, 3, v15
	v_mov_b32_dpp v17, v17 quad_perm:[1,2,3,0] row_mask:0xf bank_mask:0xf
	v_lshlrev_b32_e64 v18, v18, s0
	v_bfi_b32 v14, v18, v16, v14
	v_add_u32_e32 v15, -1, v15
	v_lshlrev_b16_e32 v16, 8, v17
	v_and_b32_e32 v15, 3, v15
	v_or_b32_sdwa v16, v17, v16 dst_sel:DWORD dst_unused:UNUSED_PAD src0_sel:BYTE_0 src1_sel:DWORD
	v_lshlrev_b32_e32 v17, 16, v16
	v_lshlrev_b32_e32 v15, 3, v15
	v_or_b32_sdwa v16, v16, v17 dst_sel:DWORD dst_unused:UNUSED_PAD src0_sel:WORD_0 src1_sel:DWORD
	v_lshlrev_b32_e64 v15, v15, s0
	v_bfi_b32 v14, v15, v16, v14
	v_bfe_u32 v15, v14, 8, 8
	v_lshrrev_b32_e32 v17, 24, v14
	s_nop 0
	v_mov_b32_dpp v16, v15 quad_perm:[1,2,3,0] row_mask:0xf bank_mask:0xf
	v_bfe_u32 v15, v14, 16, 8
	v_mov_b32_dpp v17, v17 quad_perm:[3,0,1,2] row_mask:0xf bank_mask:0xf
	s_nop 0
	v_mov_b32_dpp v15, v15 quad_perm:[2,3,0,1] row_mask:0xf bank_mask:0xf
	s_cbranch_execz .LBB18_3
	s_branch .LBB18_4
.LBB18_2:
                                        ; implicit-def: $vgpr14
                                        ; implicit-def: $vgpr17
                                        ; implicit-def: $vgpr15
                                        ; implicit-def: $vgpr16
.LBB18_3:
	ds_bpermute_b32 v12, v4, v12
	ds_bpermute_b32 v13, v3, v13
	s_movk_i32 s0, 0xff
	ds_bpermute_b32 v11, v6, v11
	v_lshlrev_b32_e64 v9, v9, s0
	s_waitcnt lgkmcnt(2)
	v_lshlrev_b16_e32 v14, 8, v12
	v_or_b32_sdwa v12, v12, v14 dst_sel:DWORD dst_unused:UNUSED_PAD src0_sel:BYTE_0 src1_sel:DWORD
	v_lshlrev_b32_e32 v14, 16, v12
	v_or_b32_sdwa v12, v12, v14 dst_sel:DWORD dst_unused:UNUSED_PAD src0_sel:WORD_0 src1_sel:DWORD
	v_bfi_b32 v9, v9, v12, v10
	s_waitcnt lgkmcnt(1)
	v_lshlrev_b16_e32 v10, 8, v13
	v_or_b32_sdwa v10, v13, v10 dst_sel:DWORD dst_unused:UNUSED_PAD src0_sel:BYTE_0 src1_sel:DWORD
	v_lshlrev_b32_e32 v12, 16, v10
	v_or_b32_sdwa v10, v10, v12 dst_sel:DWORD dst_unused:UNUSED_PAD src0_sel:WORD_0 src1_sel:DWORD
	v_lshlrev_b32_e64 v8, v8, s0
	v_bfi_b32 v8, v8, v10, v9
	s_waitcnt lgkmcnt(0)
	v_lshlrev_b16_e32 v9, 8, v11
	v_or_b32_sdwa v9, v11, v9 dst_sel:DWORD dst_unused:UNUSED_PAD src0_sel:BYTE_0 src1_sel:DWORD
	v_lshlrev_b32_e32 v10, 16, v9
	v_or_b32_sdwa v9, v9, v10 dst_sel:DWORD dst_unused:UNUSED_PAD src0_sel:WORD_0 src1_sel:DWORD
	v_lshlrev_b32_e64 v7, v7, s0
	v_bfi_b32 v7, v7, v9, v8
	v_bfe_u32 v8, v7, 8, 8
	ds_bpermute_b32 v6, v6, v8
	v_bfe_u32 v8, v7, 16, 8
	ds_bpermute_b32 v3, v3, v8
	v_lshrrev_b32_e32 v8, 24, v7
	ds_bpermute_b32 v4, v4, v8
	v_lshlrev_b16_e32 v8, 8, v7
	v_or_b32_sdwa v7, v7, v8 dst_sel:DWORD dst_unused:UNUSED_PAD src0_sel:BYTE_0 src1_sel:DWORD
	v_lshlrev_b32_e32 v8, 16, v7
	s_waitcnt lgkmcnt(2)
	v_and_b32_e32 v6, 0xff, v6
	v_or_b32_sdwa v7, v7, v8 dst_sel:DWORD dst_unused:UNUSED_PAD src0_sel:WORD_0 src1_sel:DWORD
	v_lshlrev_b32_e32 v8, 3, v2
	v_mov_b32_dpp v6, v6 quad_perm:[3,0,1,2] row_mask:0xf bank_mask:0xf
	v_lshlrev_b32_e64 v8, v8, s0
	v_and_b32_e32 v7, v8, v7
	v_lshlrev_b16_e32 v8, 8, v6
	v_and_b32_e32 v5, 3, v5
	v_or_b32_sdwa v6, v6, v8 dst_sel:DWORD dst_unused:UNUSED_PAD src0_sel:BYTE_0 src1_sel:DWORD
	s_waitcnt lgkmcnt(1)
	v_and_b32_e32 v3, 0xff, v3
	v_lshlrev_b32_e32 v8, 16, v6
	v_lshlrev_b32_e32 v5, 3, v5
	v_mov_b32_dpp v3, v3 quad_perm:[2,3,0,1] row_mask:0xf bank_mask:0xf
	v_or_b32_sdwa v6, v6, v8 dst_sel:DWORD dst_unused:UNUSED_PAD src0_sel:WORD_0 src1_sel:DWORD
	v_lshlrev_b32_e64 v5, v5, s0
	v_bfi_b32 v5, v5, v6, v7
	v_lshlrev_b16_e32 v6, 8, v3
	v_or_b32_sdwa v3, v3, v6 dst_sel:DWORD dst_unused:UNUSED_PAD src0_sel:BYTE_0 src1_sel:DWORD
	v_xor_b32_e32 v2, 2, v2
	v_lshlrev_b32_e32 v6, 16, v3
	s_waitcnt lgkmcnt(0)
	v_and_b32_e32 v4, 0xff, v4
	v_or_b32_sdwa v3, v3, v6 dst_sel:DWORD dst_unused:UNUSED_PAD src0_sel:WORD_0 src1_sel:DWORD
	v_lshlrev_b32_e32 v6, 3, v2
	v_mov_b32_dpp v4, v4 quad_perm:[1,2,3,0] row_mask:0xf bank_mask:0xf
	v_lshlrev_b32_e64 v6, v6, s0
	v_bfi_b32 v3, v6, v3, v5
	v_add_u32_e32 v2, -1, v2
	v_lshlrev_b16_e32 v5, 8, v4
	v_and_b32_e32 v2, 3, v2
	v_or_b32_sdwa v4, v4, v5 dst_sel:DWORD dst_unused:UNUSED_PAD src0_sel:BYTE_0 src1_sel:DWORD
	v_lshlrev_b32_e32 v5, 16, v4
	v_lshlrev_b32_e32 v2, 3, v2
	v_or_b32_sdwa v4, v4, v5 dst_sel:DWORD dst_unused:UNUSED_PAD src0_sel:WORD_0 src1_sel:DWORD
	v_lshlrev_b32_e64 v2, v2, s0
	v_bfi_b32 v14, v2, v4, v3
	v_bfe_u32 v2, v14, 8, 8
	s_nop 1
	v_mov_b32_dpp v16, v2 quad_perm:[1,2,3,0] row_mask:0xf bank_mask:0xf
	v_bfe_u32 v2, v14, 16, 8
	s_nop 1
	v_mov_b32_dpp v15, v2 quad_perm:[2,3,0,1] row_mask:0xf bank_mask:0xf
	v_lshrrev_b32_e32 v2, 24, v14
	s_nop 1
	v_mov_b32_dpp v17, v2 quad_perm:[3,0,1,2] row_mask:0xf bank_mask:0xf
.LBB18_4:
	v_lshlrev_b16_e32 v2, 8, v16
	v_lshlrev_b16_e32 v3, 8, v17
	v_or_b32_sdwa v2, v14, v2 dst_sel:DWORD dst_unused:UNUSED_PAD src0_sel:BYTE_0 src1_sel:DWORD
	v_or_b32_sdwa v3, v15, v3 dst_sel:WORD_1 dst_unused:UNUSED_PAD src0_sel:BYTE_0 src1_sel:DWORD
	v_lshl_add_u64 v[0:1], s[6:7], 0, v[0:1]
	v_or_b32_sdwa v2, v2, v3 dst_sel:DWORD dst_unused:UNUSED_PAD src0_sel:WORD_0 src1_sel:DWORD
	global_store_dword v[0:1], v2, off
	s_endpgm
	.section	.rodata,"a",@progbits
	.p2align	6, 0x0
	.amdhsa_kernel _Z20warp_exchange_kernelILj4ELj16EN6common25StripedToBlockedShuffleOpEaEvPT2_S3_b
		.amdhsa_group_segment_fixed_size 0
		.amdhsa_private_segment_fixed_size 0
		.amdhsa_kernarg_size 20
		.amdhsa_user_sgpr_count 2
		.amdhsa_user_sgpr_dispatch_ptr 0
		.amdhsa_user_sgpr_queue_ptr 0
		.amdhsa_user_sgpr_kernarg_segment_ptr 1
		.amdhsa_user_sgpr_dispatch_id 0
		.amdhsa_user_sgpr_kernarg_preload_length 0
		.amdhsa_user_sgpr_kernarg_preload_offset 0
		.amdhsa_user_sgpr_private_segment_size 0
		.amdhsa_uses_dynamic_stack 0
		.amdhsa_enable_private_segment 0
		.amdhsa_system_sgpr_workgroup_id_x 1
		.amdhsa_system_sgpr_workgroup_id_y 0
		.amdhsa_system_sgpr_workgroup_id_z 0
		.amdhsa_system_sgpr_workgroup_info 0
		.amdhsa_system_vgpr_workitem_id 0
		.amdhsa_next_free_vgpr 20
		.amdhsa_next_free_sgpr 8
		.amdhsa_accum_offset 20
		.amdhsa_reserve_vcc 0
		.amdhsa_float_round_mode_32 0
		.amdhsa_float_round_mode_16_64 0
		.amdhsa_float_denorm_mode_32 3
		.amdhsa_float_denorm_mode_16_64 3
		.amdhsa_dx10_clamp 1
		.amdhsa_ieee_mode 1
		.amdhsa_fp16_overflow 0
		.amdhsa_tg_split 0
		.amdhsa_exception_fp_ieee_invalid_op 0
		.amdhsa_exception_fp_denorm_src 0
		.amdhsa_exception_fp_ieee_div_zero 0
		.amdhsa_exception_fp_ieee_overflow 0
		.amdhsa_exception_fp_ieee_underflow 0
		.amdhsa_exception_fp_ieee_inexact 0
		.amdhsa_exception_int_div_zero 0
	.end_amdhsa_kernel
	.section	.text._Z20warp_exchange_kernelILj4ELj16EN6common25StripedToBlockedShuffleOpEaEvPT2_S3_b,"axG",@progbits,_Z20warp_exchange_kernelILj4ELj16EN6common25StripedToBlockedShuffleOpEaEvPT2_S3_b,comdat
.Lfunc_end18:
	.size	_Z20warp_exchange_kernelILj4ELj16EN6common25StripedToBlockedShuffleOpEaEvPT2_S3_b, .Lfunc_end18-_Z20warp_exchange_kernelILj4ELj16EN6common25StripedToBlockedShuffleOpEaEvPT2_S3_b
                                        ; -- End function
	.section	.AMDGPU.csdata,"",@progbits
; Kernel info:
; codeLenInByte = 1292
; NumSgprs: 14
; NumVgprs: 20
; NumAgprs: 0
; TotalNumVgprs: 20
; ScratchSize: 0
; MemoryBound: 0
; FloatMode: 240
; IeeeMode: 1
; LDSByteSize: 0 bytes/workgroup (compile time only)
; SGPRBlocks: 1
; VGPRBlocks: 2
; NumSGPRsForWavesPerEU: 14
; NumVGPRsForWavesPerEU: 20
; AccumOffset: 20
; Occupancy: 8
; WaveLimiterHint : 0
; COMPUTE_PGM_RSRC2:SCRATCH_EN: 0
; COMPUTE_PGM_RSRC2:USER_SGPR: 2
; COMPUTE_PGM_RSRC2:TRAP_HANDLER: 0
; COMPUTE_PGM_RSRC2:TGID_X_EN: 1
; COMPUTE_PGM_RSRC2:TGID_Y_EN: 0
; COMPUTE_PGM_RSRC2:TGID_Z_EN: 0
; COMPUTE_PGM_RSRC2:TIDIG_COMP_CNT: 0
; COMPUTE_PGM_RSRC3_GFX90A:ACCUM_OFFSET: 4
; COMPUTE_PGM_RSRC3_GFX90A:TG_SPLIT: 0
	.section	.text._Z20warp_exchange_kernelILj4ELj8EN6common25StripedToBlockedShuffleOpEiEvPT2_S3_b,"axG",@progbits,_Z20warp_exchange_kernelILj4ELj8EN6common25StripedToBlockedShuffleOpEiEvPT2_S3_b,comdat
	.protected	_Z20warp_exchange_kernelILj4ELj8EN6common25StripedToBlockedShuffleOpEiEvPT2_S3_b ; -- Begin function _Z20warp_exchange_kernelILj4ELj8EN6common25StripedToBlockedShuffleOpEiEvPT2_S3_b
	.globl	_Z20warp_exchange_kernelILj4ELj8EN6common25StripedToBlockedShuffleOpEiEvPT2_S3_b
	.p2align	8
	.type	_Z20warp_exchange_kernelILj4ELj8EN6common25StripedToBlockedShuffleOpEiEvPT2_S3_b,@function
_Z20warp_exchange_kernelILj4ELj8EN6common25StripedToBlockedShuffleOpEiEvPT2_S3_b: ; @_Z20warp_exchange_kernelILj4ELj8EN6common25StripedToBlockedShuffleOpEiEvPT2_S3_b
; %bb.0:
	s_load_dwordx4 s[40:43], s[0:1], 0x0
	s_load_dword s20, s[0:1], 0x10
	v_lshlrev_b32_e32 v1, 4, v0
	v_mbcnt_lo_u32_b32 v6, -1, 0
	v_mov_b32_e32 v7, 0
	s_waitcnt lgkmcnt(0)
	global_load_dwordx4 v[2:5], v1, s[40:41]
	v_lshlrev_b32_e32 v1, 2, v0
	v_mbcnt_hi_u32_b32 v0, -1, v6
	v_lshlrev_b32_e32 v6, 2, v0
	v_bfe_u32 v9, v0, 2, 1
	v_and_b32_e32 v10, 4, v0
	v_xor_b32_e32 v8, 16, v6
	v_xor_b32_e32 v6, 1, v9
	v_cmp_ne_u32_e32 vcc, 0, v10
	v_cmp_ne_u64_e64 s[28:29], 0, v[6:7]
	v_cmp_eq_u32_e64 s[30:31], 3, v6
	v_cmp_eq_u32_e64 s[34:35], 2, v6
	;; [unrolled: 1-line block ×3, first 2 shown]
	v_or_b32_e32 v12, 2, v9
	v_and_b32_e32 v11, 3, v0
	v_xor_b32_e32 v13, 3, v9
	v_add_u32_e32 v0, -1, v0
	v_xor_b32_e32 v11, 2, v11
	v_and_b32_e32 v0, 3, v0
	v_add_u32_e32 v14, -1, v11
	v_cmp_eq_u32_e64 s[0:1], 3, v0
	v_cmp_eq_u32_e64 s[2:3], 2, v0
	;; [unrolled: 1-line block ×4, first 2 shown]
	v_and_b32_e32 v0, 3, v14
	v_cmp_eq_u32_e64 s[16:17], 0, v13
	v_cmp_eq_u32_e64 s[18:19], 2, v13
	;; [unrolled: 1-line block ×8, first 2 shown]
	s_bitcmp0_b32 s20, 0
	v_cmp_eq_u32_e64 s[20:21], 3, v0
	v_cmp_eq_u32_e64 s[22:23], 2, v0
	;; [unrolled: 1-line block ×4, first 2 shown]
	s_waitcnt vmcnt(0)
	v_cndmask_b32_e32 v6, v3, v2, vcc
	v_cmp_eq_u32_e32 vcc, 2, v9
	s_nop 1
	v_cndmask_b32_e32 v7, v4, v2, vcc
	v_cmp_eq_u32_e32 vcc, 3, v9
	s_nop 1
	;; [unrolled: 3-line block ×6, first 2 shown]
	v_cndmask_b32_e32 v11, v6, v3, vcc
	s_cbranch_scc0 .LBB19_2
; %bb.1:
	ds_bpermute_b32 v0, v8, v4
	ds_bpermute_b32 v3, v8, v5
	s_waitcnt lgkmcnt(1)
	v_cndmask_b32_e64 v6, v11, v0, s[28:29]
	s_waitcnt lgkmcnt(0)
	v_cndmask_b32_e64 v6, v6, v3, s[38:39]
	v_cndmask_b32_e64 v7, v9, v0, s[30:31]
	ds_bpermute_b32 v6, v8, v6
	v_cndmask_b32_e64 v7, v7, v3, s[26:27]
	ds_bpermute_b32 v7, v8, v7
	v_cndmask_b32_e64 v12, v10, v0, s[34:35]
	v_cndmask_b32_e64 v0, v2, v0, s[36:37]
	;; [unrolled: 1-line block ×4, first 2 shown]
	s_waitcnt lgkmcnt(1)
	v_mov_b32_dpp v6, v6 quad_perm:[3,0,1,2] row_mask:0xf bank_mask:0xf
	v_cndmask_b32_e64 v12, v0, v6, s[0:1]
	v_mov_b32_dpp v3, v3 quad_perm:[2,3,0,1] row_mask:0xf bank_mask:0xf
	v_cndmask_b32_e64 v13, v0, v6, s[2:3]
	v_cndmask_b32_e64 v14, v0, v6, s[4:5]
	;; [unrolled: 1-line block ×3, first 2 shown]
	s_waitcnt lgkmcnt(0)
	v_mov_b32_dpp v7, v7 quad_perm:[1,2,3,0] row_mask:0xf bank_mask:0xf
	v_cndmask_b32_e64 v0, v0, v3, s[8:9]
	v_cndmask_b32_e64 v6, v14, v3, s[10:11]
	v_cndmask_b32_e64 v13, v13, v3, s[12:13]
	v_cndmask_b32_e64 v3, v12, v3, s[14:15]
	v_cndmask_b32_e64 v3, v3, v7, s[20:21]
	v_cndmask_b32_e64 v12, v13, v7, s[22:23]
	v_cndmask_b32_e64 v6, v6, v7, s[24:25]
	v_cndmask_b32_e64 v0, v0, v7, s[40:41]
	v_mov_b32_dpp v7, v12 quad_perm:[2,3,0,1] row_mask:0xf bank_mask:0xf
	v_mov_b32_dpp v6, v6 quad_perm:[1,2,3,0] row_mask:0xf bank_mask:0xf
	;; [unrolled: 1-line block ×3, first 2 shown]
	s_cbranch_execz .LBB19_3
	s_branch .LBB19_4
.LBB19_2:
                                        ; implicit-def: $vgpr3
                                        ; implicit-def: $vgpr6_vgpr7
.LBB19_3:
	ds_bpermute_b32 v0, v8, v4
	ds_bpermute_b32 v3, v8, v5
	s_waitcnt lgkmcnt(1)
	v_cndmask_b32_e64 v4, v11, v0, s[28:29]
	v_cndmask_b32_e64 v5, v9, v0, s[30:31]
	;; [unrolled: 1-line block ×4, first 2 shown]
	s_waitcnt lgkmcnt(0)
	v_cndmask_b32_e64 v2, v4, v3, s[38:39]
	ds_bpermute_b32 v2, v8, v2
	v_cndmask_b32_e64 v4, v5, v3, s[26:27]
	ds_bpermute_b32 v4, v8, v4
	v_cndmask_b32_e64 v0, v0, v3, s[16:17]
	v_cndmask_b32_e64 v3, v6, v3, s[18:19]
	s_waitcnt lgkmcnt(1)
	v_mov_b32_dpp v2, v2 quad_perm:[3,0,1,2] row_mask:0xf bank_mask:0xf
	v_cndmask_b32_e64 v5, v0, v2, s[0:1]
	v_mov_b32_dpp v3, v3 quad_perm:[2,3,0,1] row_mask:0xf bank_mask:0xf
	v_cndmask_b32_e64 v6, v0, v2, s[2:3]
	v_cndmask_b32_e64 v7, v0, v2, s[4:5]
	;; [unrolled: 1-line block ×3, first 2 shown]
	s_waitcnt lgkmcnt(0)
	v_mov_b32_dpp v4, v4 quad_perm:[1,2,3,0] row_mask:0xf bank_mask:0xf
	v_cndmask_b32_e64 v0, v0, v3, s[8:9]
	v_cndmask_b32_e64 v2, v7, v3, s[10:11]
	;; [unrolled: 1-line block ×8, first 2 shown]
	v_mov_b32_dpp v7, v5 quad_perm:[2,3,0,1] row_mask:0xf bank_mask:0xf
	v_mov_b32_dpp v6, v2 quad_perm:[1,2,3,0] row_mask:0xf bank_mask:0xf
	v_mov_b32_dpp v3, v3 quad_perm:[3,0,1,2] row_mask:0xf bank_mask:0xf
.LBB19_4:
	v_lshlrev_b32_e32 v4, 2, v1
	v_mov_b32_e32 v1, v6
	v_mov_b32_e32 v2, v7
	global_store_dwordx4 v4, v[0:3], s[42:43]
	s_endpgm
	.section	.rodata,"a",@progbits
	.p2align	6, 0x0
	.amdhsa_kernel _Z20warp_exchange_kernelILj4ELj8EN6common25StripedToBlockedShuffleOpEiEvPT2_S3_b
		.amdhsa_group_segment_fixed_size 0
		.amdhsa_private_segment_fixed_size 0
		.amdhsa_kernarg_size 20
		.amdhsa_user_sgpr_count 2
		.amdhsa_user_sgpr_dispatch_ptr 0
		.amdhsa_user_sgpr_queue_ptr 0
		.amdhsa_user_sgpr_kernarg_segment_ptr 1
		.amdhsa_user_sgpr_dispatch_id 0
		.amdhsa_user_sgpr_kernarg_preload_length 0
		.amdhsa_user_sgpr_kernarg_preload_offset 0
		.amdhsa_user_sgpr_private_segment_size 0
		.amdhsa_uses_dynamic_stack 0
		.amdhsa_enable_private_segment 0
		.amdhsa_system_sgpr_workgroup_id_x 1
		.amdhsa_system_sgpr_workgroup_id_y 0
		.amdhsa_system_sgpr_workgroup_id_z 0
		.amdhsa_system_sgpr_workgroup_info 0
		.amdhsa_system_vgpr_workitem_id 0
		.amdhsa_next_free_vgpr 15
		.amdhsa_next_free_sgpr 44
		.amdhsa_accum_offset 16
		.amdhsa_reserve_vcc 1
		.amdhsa_float_round_mode_32 0
		.amdhsa_float_round_mode_16_64 0
		.amdhsa_float_denorm_mode_32 3
		.amdhsa_float_denorm_mode_16_64 3
		.amdhsa_dx10_clamp 1
		.amdhsa_ieee_mode 1
		.amdhsa_fp16_overflow 0
		.amdhsa_tg_split 0
		.amdhsa_exception_fp_ieee_invalid_op 0
		.amdhsa_exception_fp_denorm_src 0
		.amdhsa_exception_fp_ieee_div_zero 0
		.amdhsa_exception_fp_ieee_overflow 0
		.amdhsa_exception_fp_ieee_underflow 0
		.amdhsa_exception_fp_ieee_inexact 0
		.amdhsa_exception_int_div_zero 0
	.end_amdhsa_kernel
	.section	.text._Z20warp_exchange_kernelILj4ELj8EN6common25StripedToBlockedShuffleOpEiEvPT2_S3_b,"axG",@progbits,_Z20warp_exchange_kernelILj4ELj8EN6common25StripedToBlockedShuffleOpEiEvPT2_S3_b,comdat
.Lfunc_end19:
	.size	_Z20warp_exchange_kernelILj4ELj8EN6common25StripedToBlockedShuffleOpEiEvPT2_S3_b, .Lfunc_end19-_Z20warp_exchange_kernelILj4ELj8EN6common25StripedToBlockedShuffleOpEiEvPT2_S3_b
                                        ; -- End function
	.section	.AMDGPU.csdata,"",@progbits
; Kernel info:
; codeLenInByte = 908
; NumSgprs: 50
; NumVgprs: 15
; NumAgprs: 0
; TotalNumVgprs: 15
; ScratchSize: 0
; MemoryBound: 0
; FloatMode: 240
; IeeeMode: 1
; LDSByteSize: 0 bytes/workgroup (compile time only)
; SGPRBlocks: 6
; VGPRBlocks: 1
; NumSGPRsForWavesPerEU: 50
; NumVGPRsForWavesPerEU: 15
; AccumOffset: 16
; Occupancy: 8
; WaveLimiterHint : 0
; COMPUTE_PGM_RSRC2:SCRATCH_EN: 0
; COMPUTE_PGM_RSRC2:USER_SGPR: 2
; COMPUTE_PGM_RSRC2:TRAP_HANDLER: 0
; COMPUTE_PGM_RSRC2:TGID_X_EN: 1
; COMPUTE_PGM_RSRC2:TGID_Y_EN: 0
; COMPUTE_PGM_RSRC2:TGID_Z_EN: 0
; COMPUTE_PGM_RSRC2:TIDIG_COMP_CNT: 0
; COMPUTE_PGM_RSRC3_GFX90A:ACCUM_OFFSET: 3
; COMPUTE_PGM_RSRC3_GFX90A:TG_SPLIT: 0
	.section	.text._Z20warp_exchange_kernelILj4ELj8EN6common18StripedToBlockedOpE12hip_bfloat16EvPT2_S4_b,"axG",@progbits,_Z20warp_exchange_kernelILj4ELj8EN6common18StripedToBlockedOpE12hip_bfloat16EvPT2_S4_b,comdat
	.protected	_Z20warp_exchange_kernelILj4ELj8EN6common18StripedToBlockedOpE12hip_bfloat16EvPT2_S4_b ; -- Begin function _Z20warp_exchange_kernelILj4ELj8EN6common18StripedToBlockedOpE12hip_bfloat16EvPT2_S4_b
	.globl	_Z20warp_exchange_kernelILj4ELj8EN6common18StripedToBlockedOpE12hip_bfloat16EvPT2_S4_b
	.p2align	8
	.type	_Z20warp_exchange_kernelILj4ELj8EN6common18StripedToBlockedOpE12hip_bfloat16EvPT2_S4_b,@function
_Z20warp_exchange_kernelILj4ELj8EN6common18StripedToBlockedOpE12hip_bfloat16EvPT2_S4_b: ; @_Z20warp_exchange_kernelILj4ELj8EN6common18StripedToBlockedOpE12hip_bfloat16EvPT2_S4_b
; %bb.0:
	s_load_dwordx4 s[4:7], s[0:1], 0x0
	s_load_dword s2, s[0:1], 0x10
	v_lshlrev_b32_e32 v1, 3, v0
	v_mbcnt_lo_u32_b32 v5, -1, 0
	v_lshrrev_b32_e32 v4, 3, v0
	s_waitcnt lgkmcnt(0)
	global_load_dwordx2 v[2:3], v1, s[4:5]
	v_lshlrev_b32_e32 v1, 2, v0
	v_mbcnt_hi_u32_b32 v0, -1, v5
	v_and_b32_e32 v0, 7, v0
	s_bitcmp0_b32 s2, 0
	v_lshlrev_b32_e32 v7, 1, v0
	s_waitcnt vmcnt(0)
	v_lshrrev_b32_e32 v6, 16, v2
	v_lshrrev_b32_e32 v5, 16, v3
	s_cbranch_scc0 .LBB20_2
; %bb.1:
	v_lshl_or_b32 v8, v4, 6, v7
	ds_write_b16 v8, v2 offset:512
	ds_write_b16 v8, v6 offset:528
	ds_write_b16 v8, v3 offset:544
	ds_write_b16 v8, v5 offset:560
	; wave barrier
	s_movk_i32 s2, 0x200
	s_cbranch_execz .LBB20_3
	s_branch .LBB20_4
.LBB20_2:
                                        ; implicit-def: $sgpr2
.LBB20_3:
	v_lshl_or_b32 v7, v4, 6, v7
	s_mov_b32 s2, 0
	ds_write_b16 v7, v2
	ds_write_b16 v7, v6 offset:16
	ds_write_b16 v7, v3 offset:32
	;; [unrolled: 1-line block ×3, first 2 shown]
	; wave barrier
.LBB20_4:
	v_lshlrev_b32_e32 v2, 6, v4
	v_lshlrev_b32_e32 v0, 3, v0
	v_add3_u32 v0, s2, v2, v0
	ds_read_b64 v[2:3], v0
	v_lshlrev_b32_e32 v0, 1, v1
	s_waitcnt lgkmcnt(0)
	global_store_dwordx2 v0, v[2:3], s[6:7]
	s_endpgm
	.section	.rodata,"a",@progbits
	.p2align	6, 0x0
	.amdhsa_kernel _Z20warp_exchange_kernelILj4ELj8EN6common18StripedToBlockedOpE12hip_bfloat16EvPT2_S4_b
		.amdhsa_group_segment_fixed_size 1024
		.amdhsa_private_segment_fixed_size 0
		.amdhsa_kernarg_size 20
		.amdhsa_user_sgpr_count 2
		.amdhsa_user_sgpr_dispatch_ptr 0
		.amdhsa_user_sgpr_queue_ptr 0
		.amdhsa_user_sgpr_kernarg_segment_ptr 1
		.amdhsa_user_sgpr_dispatch_id 0
		.amdhsa_user_sgpr_kernarg_preload_length 0
		.amdhsa_user_sgpr_kernarg_preload_offset 0
		.amdhsa_user_sgpr_private_segment_size 0
		.amdhsa_uses_dynamic_stack 0
		.amdhsa_enable_private_segment 0
		.amdhsa_system_sgpr_workgroup_id_x 1
		.amdhsa_system_sgpr_workgroup_id_y 0
		.amdhsa_system_sgpr_workgroup_id_z 0
		.amdhsa_system_sgpr_workgroup_info 0
		.amdhsa_system_vgpr_workitem_id 0
		.amdhsa_next_free_vgpr 9
		.amdhsa_next_free_sgpr 8
		.amdhsa_accum_offset 12
		.amdhsa_reserve_vcc 0
		.amdhsa_float_round_mode_32 0
		.amdhsa_float_round_mode_16_64 0
		.amdhsa_float_denorm_mode_32 3
		.amdhsa_float_denorm_mode_16_64 3
		.amdhsa_dx10_clamp 1
		.amdhsa_ieee_mode 1
		.amdhsa_fp16_overflow 0
		.amdhsa_tg_split 0
		.amdhsa_exception_fp_ieee_invalid_op 0
		.amdhsa_exception_fp_denorm_src 0
		.amdhsa_exception_fp_ieee_div_zero 0
		.amdhsa_exception_fp_ieee_overflow 0
		.amdhsa_exception_fp_ieee_underflow 0
		.amdhsa_exception_fp_ieee_inexact 0
		.amdhsa_exception_int_div_zero 0
	.end_amdhsa_kernel
	.section	.text._Z20warp_exchange_kernelILj4ELj8EN6common18StripedToBlockedOpE12hip_bfloat16EvPT2_S4_b,"axG",@progbits,_Z20warp_exchange_kernelILj4ELj8EN6common18StripedToBlockedOpE12hip_bfloat16EvPT2_S4_b,comdat
.Lfunc_end20:
	.size	_Z20warp_exchange_kernelILj4ELj8EN6common18StripedToBlockedOpE12hip_bfloat16EvPT2_S4_b, .Lfunc_end20-_Z20warp_exchange_kernelILj4ELj8EN6common18StripedToBlockedOpE12hip_bfloat16EvPT2_S4_b
                                        ; -- End function
	.section	.AMDGPU.csdata,"",@progbits
; Kernel info:
; codeLenInByte = 224
; NumSgprs: 14
; NumVgprs: 9
; NumAgprs: 0
; TotalNumVgprs: 9
; ScratchSize: 0
; MemoryBound: 0
; FloatMode: 240
; IeeeMode: 1
; LDSByteSize: 1024 bytes/workgroup (compile time only)
; SGPRBlocks: 1
; VGPRBlocks: 1
; NumSGPRsForWavesPerEU: 14
; NumVGPRsForWavesPerEU: 9
; AccumOffset: 12
; Occupancy: 8
; WaveLimiterHint : 0
; COMPUTE_PGM_RSRC2:SCRATCH_EN: 0
; COMPUTE_PGM_RSRC2:USER_SGPR: 2
; COMPUTE_PGM_RSRC2:TRAP_HANDLER: 0
; COMPUTE_PGM_RSRC2:TGID_X_EN: 1
; COMPUTE_PGM_RSRC2:TGID_Y_EN: 0
; COMPUTE_PGM_RSRC2:TGID_Z_EN: 0
; COMPUTE_PGM_RSRC2:TIDIG_COMP_CNT: 0
; COMPUTE_PGM_RSRC3_GFX90A:ACCUM_OFFSET: 2
; COMPUTE_PGM_RSRC3_GFX90A:TG_SPLIT: 0
	.section	.text._Z20warp_exchange_kernelILj5ELj32EN6common18StripedToBlockedOpEdEvPT2_S3_b,"axG",@progbits,_Z20warp_exchange_kernelILj5ELj32EN6common18StripedToBlockedOpEdEvPT2_S3_b,comdat
	.protected	_Z20warp_exchange_kernelILj5ELj32EN6common18StripedToBlockedOpEdEvPT2_S3_b ; -- Begin function _Z20warp_exchange_kernelILj5ELj32EN6common18StripedToBlockedOpEdEvPT2_S3_b
	.globl	_Z20warp_exchange_kernelILj5ELj32EN6common18StripedToBlockedOpEdEvPT2_S3_b
	.p2align	8
	.type	_Z20warp_exchange_kernelILj5ELj32EN6common18StripedToBlockedOpEdEvPT2_S3_b,@function
_Z20warp_exchange_kernelILj5ELj32EN6common18StripedToBlockedOpEdEvPT2_S3_b: ; @_Z20warp_exchange_kernelILj5ELj32EN6common18StripedToBlockedOpEdEvPT2_S3_b
; %bb.0:
	s_load_dwordx4 s[4:7], s[0:1], 0x0
	s_load_dword s2, s[0:1], 0x10
	v_mul_u32_u24_e32 v1, 5, v0
	v_lshlrev_b32_e32 v1, 3, v1
	v_lshrrev_b32_e32 v13, 5, v0
	s_waitcnt lgkmcnt(0)
	global_load_dwordx2 v[10:11], v1, s[4:5] offset:32
	global_load_dwordx4 v[2:5], v1, s[4:5] offset:16
	global_load_dwordx4 v[6:9], v1, s[4:5]
	v_mbcnt_lo_u32_b32 v0, -1, 0
	v_mbcnt_hi_u32_b32 v0, -1, v0
	s_bitcmp0_b32 s2, 0
	v_and_b32_e32 v0, 31, v0
	s_cbranch_scc0 .LBB21_2
; %bb.1:
	s_movk_i32 s0, 0x500
	v_mov_b32_e32 v12, 0xa00
	v_mad_u32_u24 v12, v13, s0, v12
	v_lshl_or_b32 v14, v0, 3, v12
	s_waitcnt vmcnt(0)
	ds_write2_b64 v14, v[6:7], v[8:9] offset1:32
	ds_write2_b64 v14, v[2:3], v[4:5] offset0:64 offset1:96
	ds_write_b64 v14, v[10:11] offset:1024
	; wave barrier
	s_cbranch_execz .LBB21_3
	s_branch .LBB21_4
.LBB21_2:
                                        ; implicit-def: $vgpr12
.LBB21_3:
	v_mul_u32_u24_e32 v12, 0x500, v13
	v_lshl_or_b32 v13, v0, 3, v12
	s_waitcnt vmcnt(0)
	ds_write2_b64 v13, v[6:7], v[8:9] offset1:32
	ds_write2_b64 v13, v[2:3], v[4:5] offset0:64 offset1:96
	ds_write_b64 v13, v[10:11] offset:1024
	; wave barrier
.LBB21_4:
	v_mul_u32_u24_e32 v0, 5, v0
	v_lshl_add_u32 v0, v0, 3, v12
	s_waitcnt vmcnt(1)
	ds_read2_b64 v[2:5], v0 offset1:1
	s_waitcnt vmcnt(0)
	ds_read2_b64 v[6:9], v0 offset0:2 offset1:3
	ds_read_b64 v[10:11], v0 offset:32
	s_waitcnt lgkmcnt(2)
	global_store_dwordx4 v1, v[2:5], s[6:7]
	s_waitcnt lgkmcnt(1)
	global_store_dwordx4 v1, v[6:9], s[6:7] offset:16
	s_waitcnt lgkmcnt(0)
	global_store_dwordx2 v1, v[10:11], s[6:7] offset:32
	s_endpgm
	.section	.rodata,"a",@progbits
	.p2align	6, 0x0
	.amdhsa_kernel _Z20warp_exchange_kernelILj5ELj32EN6common18StripedToBlockedOpEdEvPT2_S3_b
		.amdhsa_group_segment_fixed_size 5120
		.amdhsa_private_segment_fixed_size 0
		.amdhsa_kernarg_size 20
		.amdhsa_user_sgpr_count 2
		.amdhsa_user_sgpr_dispatch_ptr 0
		.amdhsa_user_sgpr_queue_ptr 0
		.amdhsa_user_sgpr_kernarg_segment_ptr 1
		.amdhsa_user_sgpr_dispatch_id 0
		.amdhsa_user_sgpr_kernarg_preload_length 0
		.amdhsa_user_sgpr_kernarg_preload_offset 0
		.amdhsa_user_sgpr_private_segment_size 0
		.amdhsa_uses_dynamic_stack 0
		.amdhsa_enable_private_segment 0
		.amdhsa_system_sgpr_workgroup_id_x 1
		.amdhsa_system_sgpr_workgroup_id_y 0
		.amdhsa_system_sgpr_workgroup_id_z 0
		.amdhsa_system_sgpr_workgroup_info 0
		.amdhsa_system_vgpr_workitem_id 0
		.amdhsa_next_free_vgpr 15
		.amdhsa_next_free_sgpr 8
		.amdhsa_accum_offset 16
		.amdhsa_reserve_vcc 0
		.amdhsa_float_round_mode_32 0
		.amdhsa_float_round_mode_16_64 0
		.amdhsa_float_denorm_mode_32 3
		.amdhsa_float_denorm_mode_16_64 3
		.amdhsa_dx10_clamp 1
		.amdhsa_ieee_mode 1
		.amdhsa_fp16_overflow 0
		.amdhsa_tg_split 0
		.amdhsa_exception_fp_ieee_invalid_op 0
		.amdhsa_exception_fp_denorm_src 0
		.amdhsa_exception_fp_ieee_div_zero 0
		.amdhsa_exception_fp_ieee_overflow 0
		.amdhsa_exception_fp_ieee_underflow 0
		.amdhsa_exception_fp_ieee_inexact 0
		.amdhsa_exception_int_div_zero 0
	.end_amdhsa_kernel
	.section	.text._Z20warp_exchange_kernelILj5ELj32EN6common18StripedToBlockedOpEdEvPT2_S3_b,"axG",@progbits,_Z20warp_exchange_kernelILj5ELj32EN6common18StripedToBlockedOpEdEvPT2_S3_b,comdat
.Lfunc_end21:
	.size	_Z20warp_exchange_kernelILj5ELj32EN6common18StripedToBlockedOpEdEvPT2_S3_b, .Lfunc_end21-_Z20warp_exchange_kernelILj5ELj32EN6common18StripedToBlockedOpEdEvPT2_S3_b
                                        ; -- End function
	.section	.AMDGPU.csdata,"",@progbits
; Kernel info:
; codeLenInByte = 276
; NumSgprs: 14
; NumVgprs: 15
; NumAgprs: 0
; TotalNumVgprs: 15
; ScratchSize: 0
; MemoryBound: 1
; FloatMode: 240
; IeeeMode: 1
; LDSByteSize: 5120 bytes/workgroup (compile time only)
; SGPRBlocks: 1
; VGPRBlocks: 1
; NumSGPRsForWavesPerEU: 14
; NumVGPRsForWavesPerEU: 15
; AccumOffset: 16
; Occupancy: 8
; WaveLimiterHint : 1
; COMPUTE_PGM_RSRC2:SCRATCH_EN: 0
; COMPUTE_PGM_RSRC2:USER_SGPR: 2
; COMPUTE_PGM_RSRC2:TRAP_HANDLER: 0
; COMPUTE_PGM_RSRC2:TGID_X_EN: 1
; COMPUTE_PGM_RSRC2:TGID_Y_EN: 0
; COMPUTE_PGM_RSRC2:TGID_Z_EN: 0
; COMPUTE_PGM_RSRC2:TIDIG_COMP_CNT: 0
; COMPUTE_PGM_RSRC3_GFX90A:ACCUM_OFFSET: 3
; COMPUTE_PGM_RSRC3_GFX90A:TG_SPLIT: 0
	.section	.text._Z20warp_exchange_kernelILj4ELj32EN6common18StripedToBlockedOpEfEvPT2_S3_b,"axG",@progbits,_Z20warp_exchange_kernelILj4ELj32EN6common18StripedToBlockedOpEfEvPT2_S3_b,comdat
	.protected	_Z20warp_exchange_kernelILj4ELj32EN6common18StripedToBlockedOpEfEvPT2_S3_b ; -- Begin function _Z20warp_exchange_kernelILj4ELj32EN6common18StripedToBlockedOpEfEvPT2_S3_b
	.globl	_Z20warp_exchange_kernelILj4ELj32EN6common18StripedToBlockedOpEfEvPT2_S3_b
	.p2align	8
	.type	_Z20warp_exchange_kernelILj4ELj32EN6common18StripedToBlockedOpEfEvPT2_S3_b,@function
_Z20warp_exchange_kernelILj4ELj32EN6common18StripedToBlockedOpEfEvPT2_S3_b: ; @_Z20warp_exchange_kernelILj4ELj32EN6common18StripedToBlockedOpEfEvPT2_S3_b
; %bb.0:
	s_load_dwordx4 s[4:7], s[0:1], 0x0
	s_load_dword s2, s[0:1], 0x10
	v_lshlrev_b32_e32 v1, 4, v0
	v_lshrrev_b32_e32 v7, 5, v0
	s_waitcnt lgkmcnt(0)
	global_load_dwordx4 v[2:5], v1, s[4:5]
	v_lshlrev_b32_e32 v1, 2, v0
	v_mbcnt_lo_u32_b32 v0, -1, 0
	v_mbcnt_hi_u32_b32 v0, -1, v0
	s_bitcmp0_b32 s2, 0
	v_and_b32_e32 v0, 31, v0
	s_cbranch_scc0 .LBB22_2
; %bb.1:
	v_mov_b32_e32 v6, 0x400
	v_lshl_add_u32 v6, v7, 9, v6
	v_lshl_or_b32 v8, v0, 2, v6
	s_waitcnt vmcnt(0)
	ds_write2_b32 v8, v2, v3 offset1:32
	ds_write2_b32 v8, v4, v5 offset0:64 offset1:96
	; wave barrier
	s_cbranch_execz .LBB22_3
	s_branch .LBB22_4
.LBB22_2:
                                        ; implicit-def: $vgpr6
.LBB22_3:
	v_lshlrev_b32_e32 v6, 9, v7
	v_lshl_or_b32 v7, v0, 2, v6
	s_waitcnt vmcnt(0)
	ds_write2_b32 v7, v2, v3 offset1:32
	ds_write2_b32 v7, v4, v5 offset0:64 offset1:96
	; wave barrier
.LBB22_4:
	v_lshl_add_u32 v0, v0, 4, v6
	s_waitcnt vmcnt(0)
	ds_read2_b32 v[2:3], v0 offset1:1
	ds_read2_b32 v[4:5], v0 offset0:2 offset1:3
	v_lshlrev_b32_e32 v0, 2, v1
	s_waitcnt lgkmcnt(0)
	global_store_dwordx4 v0, v[2:5], s[6:7]
	s_endpgm
	.section	.rodata,"a",@progbits
	.p2align	6, 0x0
	.amdhsa_kernel _Z20warp_exchange_kernelILj4ELj32EN6common18StripedToBlockedOpEfEvPT2_S3_b
		.amdhsa_group_segment_fixed_size 2048
		.amdhsa_private_segment_fixed_size 0
		.amdhsa_kernarg_size 20
		.amdhsa_user_sgpr_count 2
		.amdhsa_user_sgpr_dispatch_ptr 0
		.amdhsa_user_sgpr_queue_ptr 0
		.amdhsa_user_sgpr_kernarg_segment_ptr 1
		.amdhsa_user_sgpr_dispatch_id 0
		.amdhsa_user_sgpr_kernarg_preload_length 0
		.amdhsa_user_sgpr_kernarg_preload_offset 0
		.amdhsa_user_sgpr_private_segment_size 0
		.amdhsa_uses_dynamic_stack 0
		.amdhsa_enable_private_segment 0
		.amdhsa_system_sgpr_workgroup_id_x 1
		.amdhsa_system_sgpr_workgroup_id_y 0
		.amdhsa_system_sgpr_workgroup_id_z 0
		.amdhsa_system_sgpr_workgroup_info 0
		.amdhsa_system_vgpr_workitem_id 0
		.amdhsa_next_free_vgpr 9
		.amdhsa_next_free_sgpr 8
		.amdhsa_accum_offset 12
		.amdhsa_reserve_vcc 0
		.amdhsa_float_round_mode_32 0
		.amdhsa_float_round_mode_16_64 0
		.amdhsa_float_denorm_mode_32 3
		.amdhsa_float_denorm_mode_16_64 3
		.amdhsa_dx10_clamp 1
		.amdhsa_ieee_mode 1
		.amdhsa_fp16_overflow 0
		.amdhsa_tg_split 0
		.amdhsa_exception_fp_ieee_invalid_op 0
		.amdhsa_exception_fp_denorm_src 0
		.amdhsa_exception_fp_ieee_div_zero 0
		.amdhsa_exception_fp_ieee_overflow 0
		.amdhsa_exception_fp_ieee_underflow 0
		.amdhsa_exception_fp_ieee_inexact 0
		.amdhsa_exception_int_div_zero 0
	.end_amdhsa_kernel
	.section	.text._Z20warp_exchange_kernelILj4ELj32EN6common18StripedToBlockedOpEfEvPT2_S3_b,"axG",@progbits,_Z20warp_exchange_kernelILj4ELj32EN6common18StripedToBlockedOpEfEvPT2_S3_b,comdat
.Lfunc_end22:
	.size	_Z20warp_exchange_kernelILj4ELj32EN6common18StripedToBlockedOpEfEvPT2_S3_b, .Lfunc_end22-_Z20warp_exchange_kernelILj4ELj32EN6common18StripedToBlockedOpEfEvPT2_S3_b
                                        ; -- End function
	.section	.AMDGPU.csdata,"",@progbits
; Kernel info:
; codeLenInByte = 200
; NumSgprs: 14
; NumVgprs: 9
; NumAgprs: 0
; TotalNumVgprs: 9
; ScratchSize: 0
; MemoryBound: 0
; FloatMode: 240
; IeeeMode: 1
; LDSByteSize: 2048 bytes/workgroup (compile time only)
; SGPRBlocks: 1
; VGPRBlocks: 1
; NumSGPRsForWavesPerEU: 14
; NumVGPRsForWavesPerEU: 9
; AccumOffset: 12
; Occupancy: 8
; WaveLimiterHint : 0
; COMPUTE_PGM_RSRC2:SCRATCH_EN: 0
; COMPUTE_PGM_RSRC2:USER_SGPR: 2
; COMPUTE_PGM_RSRC2:TRAP_HANDLER: 0
; COMPUTE_PGM_RSRC2:TGID_X_EN: 1
; COMPUTE_PGM_RSRC2:TGID_Y_EN: 0
; COMPUTE_PGM_RSRC2:TGID_Z_EN: 0
; COMPUTE_PGM_RSRC2:TIDIG_COMP_CNT: 0
; COMPUTE_PGM_RSRC3_GFX90A:ACCUM_OFFSET: 2
; COMPUTE_PGM_RSRC3_GFX90A:TG_SPLIT: 0
	.section	.text._Z20warp_exchange_kernelILj4ELj64EN6common18StripedToBlockedOpElEvPT2_S3_b,"axG",@progbits,_Z20warp_exchange_kernelILj4ELj64EN6common18StripedToBlockedOpElEvPT2_S3_b,comdat
	.protected	_Z20warp_exchange_kernelILj4ELj64EN6common18StripedToBlockedOpElEvPT2_S3_b ; -- Begin function _Z20warp_exchange_kernelILj4ELj64EN6common18StripedToBlockedOpElEvPT2_S3_b
	.globl	_Z20warp_exchange_kernelILj4ELj64EN6common18StripedToBlockedOpElEvPT2_S3_b
	.p2align	8
	.type	_Z20warp_exchange_kernelILj4ELj64EN6common18StripedToBlockedOpElEvPT2_S3_b,@function
_Z20warp_exchange_kernelILj4ELj64EN6common18StripedToBlockedOpElEvPT2_S3_b: ; @_Z20warp_exchange_kernelILj4ELj64EN6common18StripedToBlockedOpElEvPT2_S3_b
; %bb.0:
	s_load_dwordx4 s[4:7], s[0:1], 0x0
	s_load_dword s2, s[0:1], 0x10
	v_lshlrev_b32_e32 v1, 5, v0
	v_lshrrev_b32_e32 v11, 6, v0
	s_waitcnt lgkmcnt(0)
	global_load_dwordx4 v[2:5], v1, s[4:5] offset:16
	global_load_dwordx4 v[6:9], v1, s[4:5]
	v_lshlrev_b32_e32 v1, 2, v0
	v_mbcnt_lo_u32_b32 v0, -1, 0
	s_bitcmp0_b32 s2, 0
	v_mbcnt_hi_u32_b32 v0, -1, v0
	s_cbranch_scc0 .LBB23_2
; %bb.1:
	v_mov_b32_e32 v10, 0x800
	v_lshl_add_u32 v10, v11, 11, v10
	v_lshl_or_b32 v12, v0, 3, v10
	s_waitcnt vmcnt(0)
	ds_write2st64_b64 v12, v[6:7], v[8:9] offset1:1
	ds_write2st64_b64 v12, v[2:3], v[4:5] offset0:2 offset1:3
	; wave barrier
	s_cbranch_execz .LBB23_3
	s_branch .LBB23_4
.LBB23_2:
                                        ; implicit-def: $vgpr10
.LBB23_3:
	v_lshlrev_b32_e32 v10, 11, v11
	v_lshl_or_b32 v11, v0, 3, v10
	s_waitcnt vmcnt(0)
	ds_write2st64_b64 v11, v[6:7], v[8:9] offset1:1
	ds_write2st64_b64 v11, v[2:3], v[4:5] offset0:2 offset1:3
	; wave barrier
.LBB23_4:
	v_lshl_add_u32 v0, v0, 5, v10
	s_waitcnt vmcnt(1)
	ds_read2_b64 v[2:5], v0 offset1:1
	s_waitcnt vmcnt(0)
	ds_read2_b64 v[6:9], v0 offset0:2 offset1:3
	v_lshlrev_b32_e32 v0, 3, v1
	s_waitcnt lgkmcnt(1)
	global_store_dwordx4 v0, v[2:5], s[6:7]
	s_waitcnt lgkmcnt(0)
	global_store_dwordx4 v0, v[6:9], s[6:7] offset:16
	s_endpgm
	.section	.rodata,"a",@progbits
	.p2align	6, 0x0
	.amdhsa_kernel _Z20warp_exchange_kernelILj4ELj64EN6common18StripedToBlockedOpElEvPT2_S3_b
		.amdhsa_group_segment_fixed_size 4096
		.amdhsa_private_segment_fixed_size 0
		.amdhsa_kernarg_size 20
		.amdhsa_user_sgpr_count 2
		.amdhsa_user_sgpr_dispatch_ptr 0
		.amdhsa_user_sgpr_queue_ptr 0
		.amdhsa_user_sgpr_kernarg_segment_ptr 1
		.amdhsa_user_sgpr_dispatch_id 0
		.amdhsa_user_sgpr_kernarg_preload_length 0
		.amdhsa_user_sgpr_kernarg_preload_offset 0
		.amdhsa_user_sgpr_private_segment_size 0
		.amdhsa_uses_dynamic_stack 0
		.amdhsa_enable_private_segment 0
		.amdhsa_system_sgpr_workgroup_id_x 1
		.amdhsa_system_sgpr_workgroup_id_y 0
		.amdhsa_system_sgpr_workgroup_id_z 0
		.amdhsa_system_sgpr_workgroup_info 0
		.amdhsa_system_vgpr_workitem_id 0
		.amdhsa_next_free_vgpr 13
		.amdhsa_next_free_sgpr 8
		.amdhsa_accum_offset 16
		.amdhsa_reserve_vcc 0
		.amdhsa_float_round_mode_32 0
		.amdhsa_float_round_mode_16_64 0
		.amdhsa_float_denorm_mode_32 3
		.amdhsa_float_denorm_mode_16_64 3
		.amdhsa_dx10_clamp 1
		.amdhsa_ieee_mode 1
		.amdhsa_fp16_overflow 0
		.amdhsa_tg_split 0
		.amdhsa_exception_fp_ieee_invalid_op 0
		.amdhsa_exception_fp_denorm_src 0
		.amdhsa_exception_fp_ieee_div_zero 0
		.amdhsa_exception_fp_ieee_overflow 0
		.amdhsa_exception_fp_ieee_underflow 0
		.amdhsa_exception_fp_ieee_inexact 0
		.amdhsa_exception_int_div_zero 0
	.end_amdhsa_kernel
	.section	.text._Z20warp_exchange_kernelILj4ELj64EN6common18StripedToBlockedOpElEvPT2_S3_b,"axG",@progbits,_Z20warp_exchange_kernelILj4ELj64EN6common18StripedToBlockedOpElEvPT2_S3_b,comdat
.Lfunc_end23:
	.size	_Z20warp_exchange_kernelILj4ELj64EN6common18StripedToBlockedOpElEvPT2_S3_b, .Lfunc_end23-_Z20warp_exchange_kernelILj4ELj64EN6common18StripedToBlockedOpElEvPT2_S3_b
                                        ; -- End function
	.section	.AMDGPU.csdata,"",@progbits
; Kernel info:
; codeLenInByte = 220
; NumSgprs: 14
; NumVgprs: 13
; NumAgprs: 0
; TotalNumVgprs: 13
; ScratchSize: 0
; MemoryBound: 1
; FloatMode: 240
; IeeeMode: 1
; LDSByteSize: 4096 bytes/workgroup (compile time only)
; SGPRBlocks: 1
; VGPRBlocks: 1
; NumSGPRsForWavesPerEU: 14
; NumVGPRsForWavesPerEU: 13
; AccumOffset: 16
; Occupancy: 8
; WaveLimiterHint : 1
; COMPUTE_PGM_RSRC2:SCRATCH_EN: 0
; COMPUTE_PGM_RSRC2:USER_SGPR: 2
; COMPUTE_PGM_RSRC2:TRAP_HANDLER: 0
; COMPUTE_PGM_RSRC2:TGID_X_EN: 1
; COMPUTE_PGM_RSRC2:TGID_Y_EN: 0
; COMPUTE_PGM_RSRC2:TGID_Z_EN: 0
; COMPUTE_PGM_RSRC2:TIDIG_COMP_CNT: 0
; COMPUTE_PGM_RSRC3_GFX90A:ACCUM_OFFSET: 3
; COMPUTE_PGM_RSRC3_GFX90A:TG_SPLIT: 0
	.section	.text._Z20warp_exchange_kernelILj2ELj32EN6common18StripedToBlockedOpEsEvPT2_S3_b,"axG",@progbits,_Z20warp_exchange_kernelILj2ELj32EN6common18StripedToBlockedOpEsEvPT2_S3_b,comdat
	.protected	_Z20warp_exchange_kernelILj2ELj32EN6common18StripedToBlockedOpEsEvPT2_S3_b ; -- Begin function _Z20warp_exchange_kernelILj2ELj32EN6common18StripedToBlockedOpEsEvPT2_S3_b
	.globl	_Z20warp_exchange_kernelILj2ELj32EN6common18StripedToBlockedOpEsEvPT2_S3_b
	.p2align	8
	.type	_Z20warp_exchange_kernelILj2ELj32EN6common18StripedToBlockedOpEsEvPT2_S3_b,@function
_Z20warp_exchange_kernelILj2ELj32EN6common18StripedToBlockedOpEsEvPT2_S3_b: ; @_Z20warp_exchange_kernelILj2ELj32EN6common18StripedToBlockedOpEsEvPT2_S3_b
; %bb.0:
	s_load_dwordx4 s[4:7], s[0:1], 0x0
	s_load_dword s2, s[0:1], 0x10
	v_lshlrev_b32_e32 v1, 2, v0
	v_mbcnt_lo_u32_b32 v4, -1, 0
	v_lshrrev_b32_e32 v2, 5, v0
	s_waitcnt lgkmcnt(0)
	global_load_dword v3, v1, s[4:5]
	v_lshlrev_b32_e32 v1, 1, v0
	v_mbcnt_hi_u32_b32 v0, -1, v4
	v_and_b32_e32 v0, 31, v0
	s_bitcmp0_b32 s2, 0
	v_lshlrev_b32_e32 v5, 1, v0
	s_waitcnt vmcnt(0)
	v_lshrrev_b32_e32 v4, 16, v3
	s_cbranch_scc0 .LBB24_2
; %bb.1:
	v_lshl_or_b32 v6, v2, 7, v5
	ds_write_b16 v6, v3 offset:256
	ds_write_b16 v6, v4 offset:320
	; wave barrier
	s_movk_i32 s2, 0x100
	s_cbranch_execz .LBB24_3
	s_branch .LBB24_4
.LBB24_2:
                                        ; implicit-def: $sgpr2
.LBB24_3:
	v_lshl_or_b32 v5, v2, 7, v5
	s_mov_b32 s2, 0
	ds_write_b16 v5, v3
	ds_write_b16 v5, v4 offset:64
	; wave barrier
.LBB24_4:
	v_lshlrev_b32_e32 v2, 7, v2
	v_lshlrev_b32_e32 v0, 2, v0
	v_add3_u32 v0, s2, v2, v0
	ds_read_b32 v0, v0
	v_lshlrev_b32_e32 v1, 1, v1
	s_waitcnt lgkmcnt(0)
	global_store_dword v1, v0, s[6:7]
	s_endpgm
	.section	.rodata,"a",@progbits
	.p2align	6, 0x0
	.amdhsa_kernel _Z20warp_exchange_kernelILj2ELj32EN6common18StripedToBlockedOpEsEvPT2_S3_b
		.amdhsa_group_segment_fixed_size 512
		.amdhsa_private_segment_fixed_size 0
		.amdhsa_kernarg_size 20
		.amdhsa_user_sgpr_count 2
		.amdhsa_user_sgpr_dispatch_ptr 0
		.amdhsa_user_sgpr_queue_ptr 0
		.amdhsa_user_sgpr_kernarg_segment_ptr 1
		.amdhsa_user_sgpr_dispatch_id 0
		.amdhsa_user_sgpr_kernarg_preload_length 0
		.amdhsa_user_sgpr_kernarg_preload_offset 0
		.amdhsa_user_sgpr_private_segment_size 0
		.amdhsa_uses_dynamic_stack 0
		.amdhsa_enable_private_segment 0
		.amdhsa_system_sgpr_workgroup_id_x 1
		.amdhsa_system_sgpr_workgroup_id_y 0
		.amdhsa_system_sgpr_workgroup_id_z 0
		.amdhsa_system_sgpr_workgroup_info 0
		.amdhsa_system_vgpr_workitem_id 0
		.amdhsa_next_free_vgpr 7
		.amdhsa_next_free_sgpr 8
		.amdhsa_accum_offset 8
		.amdhsa_reserve_vcc 0
		.amdhsa_float_round_mode_32 0
		.amdhsa_float_round_mode_16_64 0
		.amdhsa_float_denorm_mode_32 3
		.amdhsa_float_denorm_mode_16_64 3
		.amdhsa_dx10_clamp 1
		.amdhsa_ieee_mode 1
		.amdhsa_fp16_overflow 0
		.amdhsa_tg_split 0
		.amdhsa_exception_fp_ieee_invalid_op 0
		.amdhsa_exception_fp_denorm_src 0
		.amdhsa_exception_fp_ieee_div_zero 0
		.amdhsa_exception_fp_ieee_overflow 0
		.amdhsa_exception_fp_ieee_underflow 0
		.amdhsa_exception_fp_ieee_inexact 0
		.amdhsa_exception_int_div_zero 0
	.end_amdhsa_kernel
	.section	.text._Z20warp_exchange_kernelILj2ELj32EN6common18StripedToBlockedOpEsEvPT2_S3_b,"axG",@progbits,_Z20warp_exchange_kernelILj2ELj32EN6common18StripedToBlockedOpEsEvPT2_S3_b,comdat
.Lfunc_end24:
	.size	_Z20warp_exchange_kernelILj2ELj32EN6common18StripedToBlockedOpEsEvPT2_S3_b, .Lfunc_end24-_Z20warp_exchange_kernelILj2ELj32EN6common18StripedToBlockedOpEsEvPT2_S3_b
                                        ; -- End function
	.section	.AMDGPU.csdata,"",@progbits
; Kernel info:
; codeLenInByte = 188
; NumSgprs: 14
; NumVgprs: 7
; NumAgprs: 0
; TotalNumVgprs: 7
; ScratchSize: 0
; MemoryBound: 0
; FloatMode: 240
; IeeeMode: 1
; LDSByteSize: 512 bytes/workgroup (compile time only)
; SGPRBlocks: 1
; VGPRBlocks: 0
; NumSGPRsForWavesPerEU: 14
; NumVGPRsForWavesPerEU: 7
; AccumOffset: 8
; Occupancy: 8
; WaveLimiterHint : 0
; COMPUTE_PGM_RSRC2:SCRATCH_EN: 0
; COMPUTE_PGM_RSRC2:USER_SGPR: 2
; COMPUTE_PGM_RSRC2:TRAP_HANDLER: 0
; COMPUTE_PGM_RSRC2:TGID_X_EN: 1
; COMPUTE_PGM_RSRC2:TGID_Y_EN: 0
; COMPUTE_PGM_RSRC2:TGID_Z_EN: 0
; COMPUTE_PGM_RSRC2:TIDIG_COMP_CNT: 0
; COMPUTE_PGM_RSRC3_GFX90A:ACCUM_OFFSET: 1
; COMPUTE_PGM_RSRC3_GFX90A:TG_SPLIT: 0
	.section	.text._Z20warp_exchange_kernelILj4ELj16EN6common18StripedToBlockedOpEaEvPT2_S3_b,"axG",@progbits,_Z20warp_exchange_kernelILj4ELj16EN6common18StripedToBlockedOpEaEvPT2_S3_b,comdat
	.protected	_Z20warp_exchange_kernelILj4ELj16EN6common18StripedToBlockedOpEaEvPT2_S3_b ; -- Begin function _Z20warp_exchange_kernelILj4ELj16EN6common18StripedToBlockedOpEaEvPT2_S3_b
	.globl	_Z20warp_exchange_kernelILj4ELj16EN6common18StripedToBlockedOpEaEvPT2_S3_b
	.p2align	8
	.type	_Z20warp_exchange_kernelILj4ELj16EN6common18StripedToBlockedOpEaEvPT2_S3_b,@function
_Z20warp_exchange_kernelILj4ELj16EN6common18StripedToBlockedOpEaEvPT2_S3_b: ; @_Z20warp_exchange_kernelILj4ELj16EN6common18StripedToBlockedOpEaEvPT2_S3_b
; %bb.0:
	s_load_dwordx4 s[4:7], s[0:1], 0x0
	s_load_dword s2, s[0:1], 0x10
	v_lshlrev_b32_e32 v2, 2, v0
	v_mbcnt_lo_u32_b32 v1, -1, 0
	v_mbcnt_hi_u32_b32 v1, -1, v1
	s_waitcnt lgkmcnt(0)
	global_load_dword v4, v2, s[4:5]
	v_lshrrev_b32_e32 v0, 4, v0
	v_and_b32_e32 v1, 15, v1
	v_mov_b32_e32 v3, 0
	s_bitcmp0_b32 s2, 0
	v_lshl_or_b32 v8, v0, 6, v1
	s_waitcnt vmcnt(0)
	v_lshrrev_b32_e32 v5, 16, v4
	v_lshrrev_b32_e32 v7, 8, v4
	;; [unrolled: 1-line block ×3, first 2 shown]
	s_cbranch_scc0 .LBB25_2
; %bb.1:
	ds_write_b8 v8, v4 offset:256
	ds_write_b8 v8, v7 offset:272
	;; [unrolled: 1-line block ×4, first 2 shown]
	; wave barrier
	s_movk_i32 s2, 0x100
	s_cbranch_execz .LBB25_3
	s_branch .LBB25_4
.LBB25_2:
                                        ; implicit-def: $sgpr2
.LBB25_3:
	s_mov_b32 s2, 0
	ds_write_b8 v8, v4
	ds_write_b8 v8, v7 offset:16
	ds_write_b8 v8, v5 offset:32
	;; [unrolled: 1-line block ×3, first 2 shown]
	; wave barrier
.LBB25_4:
	v_lshlrev_b32_e32 v0, 6, v0
	v_lshlrev_b32_e32 v1, 2, v1
	v_add3_u32 v0, s2, v0, v1
	ds_read_b32 v4, v0
	v_lshl_add_u64 v[0:1], s[6:7], 0, v[2:3]
	s_waitcnt lgkmcnt(0)
	global_store_dword v[0:1], v4, off
	s_endpgm
	.section	.rodata,"a",@progbits
	.p2align	6, 0x0
	.amdhsa_kernel _Z20warp_exchange_kernelILj4ELj16EN6common18StripedToBlockedOpEaEvPT2_S3_b
		.amdhsa_group_segment_fixed_size 512
		.amdhsa_private_segment_fixed_size 0
		.amdhsa_kernarg_size 20
		.amdhsa_user_sgpr_count 2
		.amdhsa_user_sgpr_dispatch_ptr 0
		.amdhsa_user_sgpr_queue_ptr 0
		.amdhsa_user_sgpr_kernarg_segment_ptr 1
		.amdhsa_user_sgpr_dispatch_id 0
		.amdhsa_user_sgpr_kernarg_preload_length 0
		.amdhsa_user_sgpr_kernarg_preload_offset 0
		.amdhsa_user_sgpr_private_segment_size 0
		.amdhsa_uses_dynamic_stack 0
		.amdhsa_enable_private_segment 0
		.amdhsa_system_sgpr_workgroup_id_x 1
		.amdhsa_system_sgpr_workgroup_id_y 0
		.amdhsa_system_sgpr_workgroup_id_z 0
		.amdhsa_system_sgpr_workgroup_info 0
		.amdhsa_system_vgpr_workitem_id 0
		.amdhsa_next_free_vgpr 9
		.amdhsa_next_free_sgpr 8
		.amdhsa_accum_offset 12
		.amdhsa_reserve_vcc 0
		.amdhsa_float_round_mode_32 0
		.amdhsa_float_round_mode_16_64 0
		.amdhsa_float_denorm_mode_32 3
		.amdhsa_float_denorm_mode_16_64 3
		.amdhsa_dx10_clamp 1
		.amdhsa_ieee_mode 1
		.amdhsa_fp16_overflow 0
		.amdhsa_tg_split 0
		.amdhsa_exception_fp_ieee_invalid_op 0
		.amdhsa_exception_fp_denorm_src 0
		.amdhsa_exception_fp_ieee_div_zero 0
		.amdhsa_exception_fp_ieee_overflow 0
		.amdhsa_exception_fp_ieee_underflow 0
		.amdhsa_exception_fp_ieee_inexact 0
		.amdhsa_exception_int_div_zero 0
	.end_amdhsa_kernel
	.section	.text._Z20warp_exchange_kernelILj4ELj16EN6common18StripedToBlockedOpEaEvPT2_S3_b,"axG",@progbits,_Z20warp_exchange_kernelILj4ELj16EN6common18StripedToBlockedOpEaEvPT2_S3_b,comdat
.Lfunc_end25:
	.size	_Z20warp_exchange_kernelILj4ELj16EN6common18StripedToBlockedOpEaEvPT2_S3_b, .Lfunc_end25-_Z20warp_exchange_kernelILj4ELj16EN6common18StripedToBlockedOpEaEvPT2_S3_b
                                        ; -- End function
	.section	.AMDGPU.csdata,"",@progbits
; Kernel info:
; codeLenInByte = 220
; NumSgprs: 14
; NumVgprs: 9
; NumAgprs: 0
; TotalNumVgprs: 9
; ScratchSize: 0
; MemoryBound: 0
; FloatMode: 240
; IeeeMode: 1
; LDSByteSize: 512 bytes/workgroup (compile time only)
; SGPRBlocks: 1
; VGPRBlocks: 1
; NumSGPRsForWavesPerEU: 14
; NumVGPRsForWavesPerEU: 9
; AccumOffset: 12
; Occupancy: 8
; WaveLimiterHint : 0
; COMPUTE_PGM_RSRC2:SCRATCH_EN: 0
; COMPUTE_PGM_RSRC2:USER_SGPR: 2
; COMPUTE_PGM_RSRC2:TRAP_HANDLER: 0
; COMPUTE_PGM_RSRC2:TGID_X_EN: 1
; COMPUTE_PGM_RSRC2:TGID_Y_EN: 0
; COMPUTE_PGM_RSRC2:TGID_Z_EN: 0
; COMPUTE_PGM_RSRC2:TIDIG_COMP_CNT: 0
; COMPUTE_PGM_RSRC3_GFX90A:ACCUM_OFFSET: 2
; COMPUTE_PGM_RSRC3_GFX90A:TG_SPLIT: 0
	.section	.text._Z20warp_exchange_kernelILj4ELj8EN6common18StripedToBlockedOpEiEvPT2_S3_b,"axG",@progbits,_Z20warp_exchange_kernelILj4ELj8EN6common18StripedToBlockedOpEiEvPT2_S3_b,comdat
	.protected	_Z20warp_exchange_kernelILj4ELj8EN6common18StripedToBlockedOpEiEvPT2_S3_b ; -- Begin function _Z20warp_exchange_kernelILj4ELj8EN6common18StripedToBlockedOpEiEvPT2_S3_b
	.globl	_Z20warp_exchange_kernelILj4ELj8EN6common18StripedToBlockedOpEiEvPT2_S3_b
	.p2align	8
	.type	_Z20warp_exchange_kernelILj4ELj8EN6common18StripedToBlockedOpEiEvPT2_S3_b,@function
_Z20warp_exchange_kernelILj4ELj8EN6common18StripedToBlockedOpEiEvPT2_S3_b: ; @_Z20warp_exchange_kernelILj4ELj8EN6common18StripedToBlockedOpEiEvPT2_S3_b
; %bb.0:
	s_load_dwordx4 s[4:7], s[0:1], 0x0
	s_load_dword s2, s[0:1], 0x10
	v_lshlrev_b32_e32 v1, 4, v0
	v_lshrrev_b32_e32 v7, 3, v0
	s_waitcnt lgkmcnt(0)
	global_load_dwordx4 v[2:5], v1, s[4:5]
	v_lshlrev_b32_e32 v1, 2, v0
	v_mbcnt_lo_u32_b32 v0, -1, 0
	v_mbcnt_hi_u32_b32 v0, -1, v0
	s_bitcmp0_b32 s2, 0
	v_and_b32_e32 v0, 7, v0
	s_cbranch_scc0 .LBB26_2
; %bb.1:
	v_mov_b32_e32 v6, 0x400
	v_lshl_add_u32 v6, v7, 7, v6
	v_lshl_or_b32 v8, v0, 2, v6
	s_waitcnt vmcnt(0)
	ds_write2_b32 v8, v2, v3 offset1:8
	ds_write2_b32 v8, v4, v5 offset0:16 offset1:24
	; wave barrier
	s_cbranch_execz .LBB26_3
	s_branch .LBB26_4
.LBB26_2:
                                        ; implicit-def: $vgpr6
.LBB26_3:
	v_lshlrev_b32_e32 v6, 7, v7
	v_lshl_or_b32 v7, v0, 2, v6
	s_waitcnt vmcnt(0)
	ds_write2_b32 v7, v2, v3 offset1:8
	ds_write2_b32 v7, v4, v5 offset0:16 offset1:24
	; wave barrier
.LBB26_4:
	v_lshl_add_u32 v0, v0, 4, v6
	s_waitcnt vmcnt(0)
	ds_read2_b32 v[2:3], v0 offset1:1
	ds_read2_b32 v[4:5], v0 offset0:2 offset1:3
	v_lshlrev_b32_e32 v0, 2, v1
	s_waitcnt lgkmcnt(0)
	global_store_dwordx4 v0, v[2:5], s[6:7]
	s_endpgm
	.section	.rodata,"a",@progbits
	.p2align	6, 0x0
	.amdhsa_kernel _Z20warp_exchange_kernelILj4ELj8EN6common18StripedToBlockedOpEiEvPT2_S3_b
		.amdhsa_group_segment_fixed_size 2048
		.amdhsa_private_segment_fixed_size 0
		.amdhsa_kernarg_size 20
		.amdhsa_user_sgpr_count 2
		.amdhsa_user_sgpr_dispatch_ptr 0
		.amdhsa_user_sgpr_queue_ptr 0
		.amdhsa_user_sgpr_kernarg_segment_ptr 1
		.amdhsa_user_sgpr_dispatch_id 0
		.amdhsa_user_sgpr_kernarg_preload_length 0
		.amdhsa_user_sgpr_kernarg_preload_offset 0
		.amdhsa_user_sgpr_private_segment_size 0
		.amdhsa_uses_dynamic_stack 0
		.amdhsa_enable_private_segment 0
		.amdhsa_system_sgpr_workgroup_id_x 1
		.amdhsa_system_sgpr_workgroup_id_y 0
		.amdhsa_system_sgpr_workgroup_id_z 0
		.amdhsa_system_sgpr_workgroup_info 0
		.amdhsa_system_vgpr_workitem_id 0
		.amdhsa_next_free_vgpr 9
		.amdhsa_next_free_sgpr 8
		.amdhsa_accum_offset 12
		.amdhsa_reserve_vcc 0
		.amdhsa_float_round_mode_32 0
		.amdhsa_float_round_mode_16_64 0
		.amdhsa_float_denorm_mode_32 3
		.amdhsa_float_denorm_mode_16_64 3
		.amdhsa_dx10_clamp 1
		.amdhsa_ieee_mode 1
		.amdhsa_fp16_overflow 0
		.amdhsa_tg_split 0
		.amdhsa_exception_fp_ieee_invalid_op 0
		.amdhsa_exception_fp_denorm_src 0
		.amdhsa_exception_fp_ieee_div_zero 0
		.amdhsa_exception_fp_ieee_overflow 0
		.amdhsa_exception_fp_ieee_underflow 0
		.amdhsa_exception_fp_ieee_inexact 0
		.amdhsa_exception_int_div_zero 0
	.end_amdhsa_kernel
	.section	.text._Z20warp_exchange_kernelILj4ELj8EN6common18StripedToBlockedOpEiEvPT2_S3_b,"axG",@progbits,_Z20warp_exchange_kernelILj4ELj8EN6common18StripedToBlockedOpEiEvPT2_S3_b,comdat
.Lfunc_end26:
	.size	_Z20warp_exchange_kernelILj4ELj8EN6common18StripedToBlockedOpEiEvPT2_S3_b, .Lfunc_end26-_Z20warp_exchange_kernelILj4ELj8EN6common18StripedToBlockedOpEiEvPT2_S3_b
                                        ; -- End function
	.section	.AMDGPU.csdata,"",@progbits
; Kernel info:
; codeLenInByte = 200
; NumSgprs: 14
; NumVgprs: 9
; NumAgprs: 0
; TotalNumVgprs: 9
; ScratchSize: 0
; MemoryBound: 0
; FloatMode: 240
; IeeeMode: 1
; LDSByteSize: 2048 bytes/workgroup (compile time only)
; SGPRBlocks: 1
; VGPRBlocks: 1
; NumSGPRsForWavesPerEU: 14
; NumVGPRsForWavesPerEU: 9
; AccumOffset: 12
; Occupancy: 8
; WaveLimiterHint : 0
; COMPUTE_PGM_RSRC2:SCRATCH_EN: 0
; COMPUTE_PGM_RSRC2:USER_SGPR: 2
; COMPUTE_PGM_RSRC2:TRAP_HANDLER: 0
; COMPUTE_PGM_RSRC2:TGID_X_EN: 1
; COMPUTE_PGM_RSRC2:TGID_Y_EN: 0
; COMPUTE_PGM_RSRC2:TGID_Z_EN: 0
; COMPUTE_PGM_RSRC2:TIDIG_COMP_CNT: 0
; COMPUTE_PGM_RSRC3_GFX90A:ACCUM_OFFSET: 2
; COMPUTE_PGM_RSRC3_GFX90A:TG_SPLIT: 0
	.section	.text._Z20warp_exchange_kernelILj2ELj16EN6common25StripedToBlockedShuffleOpEfEvPT2_S3_b,"axG",@progbits,_Z20warp_exchange_kernelILj2ELj16EN6common25StripedToBlockedShuffleOpEfEvPT2_S3_b,comdat
	.protected	_Z20warp_exchange_kernelILj2ELj16EN6common25StripedToBlockedShuffleOpEfEvPT2_S3_b ; -- Begin function _Z20warp_exchange_kernelILj2ELj16EN6common25StripedToBlockedShuffleOpEfEvPT2_S3_b
	.globl	_Z20warp_exchange_kernelILj2ELj16EN6common25StripedToBlockedShuffleOpEfEvPT2_S3_b
	.p2align	8
	.type	_Z20warp_exchange_kernelILj2ELj16EN6common25StripedToBlockedShuffleOpEfEvPT2_S3_b,@function
_Z20warp_exchange_kernelILj2ELj16EN6common25StripedToBlockedShuffleOpEfEvPT2_S3_b: ; @_Z20warp_exchange_kernelILj2ELj16EN6common25StripedToBlockedShuffleOpEfEvPT2_S3_b
; %bb.0:
	s_load_dwordx4 s[4:7], s[0:1], 0x0
	s_load_dword s2, s[0:1], 0x10
	v_lshlrev_b32_e32 v1, 3, v0
	v_lshlrev_b32_e32 v4, 1, v0
	v_mbcnt_lo_u32_b32 v0, -1, 0
	s_waitcnt lgkmcnt(0)
	global_load_dwordx2 v[2:3], v1, s[4:5]
	v_mbcnt_hi_u32_b32 v0, -1, v0
	v_and_b32_e32 v1, 15, v0
	v_lshlrev_b32_e32 v5, 1, v0
	v_and_b32_e32 v0, 0x70, v0
	v_and_or_b32 v0, v5, 14, v0
	v_lshlrev_b32_e32 v5, 2, v0
	s_bitcmp0_b32 s2, 0
	v_cmp_gt_u32_e64 s[0:1], 8, v1
	v_or_b32_e32 v6, 4, v5
	s_cbranch_scc0 .LBB27_2
; %bb.1:
	s_waitcnt vmcnt(0)
	ds_bpermute_b32 v0, v5, v2
	ds_bpermute_b32 v1, v6, v2
	;; [unrolled: 1-line block ×4, first 2 shown]
	s_waitcnt lgkmcnt(1)
	v_cndmask_b32_e64 v1, v7, v1, s[0:1]
	s_waitcnt lgkmcnt(0)
	v_cndmask_b32_e64 v0, v8, v0, s[0:1]
	s_cbranch_execz .LBB27_3
	s_branch .LBB27_4
.LBB27_2:
                                        ; implicit-def: $vgpr0_vgpr1
.LBB27_3:
	s_waitcnt vmcnt(0)
	ds_bpermute_b32 v0, v5, v2
	ds_bpermute_b32 v1, v6, v2
	;; [unrolled: 1-line block ×4, first 2 shown]
	s_waitcnt lgkmcnt(1)
	v_cndmask_b32_e64 v1, v2, v1, s[0:1]
	s_waitcnt lgkmcnt(0)
	v_cndmask_b32_e64 v0, v3, v0, s[0:1]
.LBB27_4:
	s_waitcnt vmcnt(0)
	v_lshlrev_b32_e32 v2, 2, v4
	global_store_dwordx2 v2, v[0:1], s[6:7]
	s_endpgm
	.section	.rodata,"a",@progbits
	.p2align	6, 0x0
	.amdhsa_kernel _Z20warp_exchange_kernelILj2ELj16EN6common25StripedToBlockedShuffleOpEfEvPT2_S3_b
		.amdhsa_group_segment_fixed_size 0
		.amdhsa_private_segment_fixed_size 0
		.amdhsa_kernarg_size 20
		.amdhsa_user_sgpr_count 2
		.amdhsa_user_sgpr_dispatch_ptr 0
		.amdhsa_user_sgpr_queue_ptr 0
		.amdhsa_user_sgpr_kernarg_segment_ptr 1
		.amdhsa_user_sgpr_dispatch_id 0
		.amdhsa_user_sgpr_kernarg_preload_length 0
		.amdhsa_user_sgpr_kernarg_preload_offset 0
		.amdhsa_user_sgpr_private_segment_size 0
		.amdhsa_uses_dynamic_stack 0
		.amdhsa_enable_private_segment 0
		.amdhsa_system_sgpr_workgroup_id_x 1
		.amdhsa_system_sgpr_workgroup_id_y 0
		.amdhsa_system_sgpr_workgroup_id_z 0
		.amdhsa_system_sgpr_workgroup_info 0
		.amdhsa_system_vgpr_workitem_id 0
		.amdhsa_next_free_vgpr 9
		.amdhsa_next_free_sgpr 8
		.amdhsa_accum_offset 12
		.amdhsa_reserve_vcc 0
		.amdhsa_float_round_mode_32 0
		.amdhsa_float_round_mode_16_64 0
		.amdhsa_float_denorm_mode_32 3
		.amdhsa_float_denorm_mode_16_64 3
		.amdhsa_dx10_clamp 1
		.amdhsa_ieee_mode 1
		.amdhsa_fp16_overflow 0
		.amdhsa_tg_split 0
		.amdhsa_exception_fp_ieee_invalid_op 0
		.amdhsa_exception_fp_denorm_src 0
		.amdhsa_exception_fp_ieee_div_zero 0
		.amdhsa_exception_fp_ieee_overflow 0
		.amdhsa_exception_fp_ieee_underflow 0
		.amdhsa_exception_fp_ieee_inexact 0
		.amdhsa_exception_int_div_zero 0
	.end_amdhsa_kernel
	.section	.text._Z20warp_exchange_kernelILj2ELj16EN6common25StripedToBlockedShuffleOpEfEvPT2_S3_b,"axG",@progbits,_Z20warp_exchange_kernelILj2ELj16EN6common25StripedToBlockedShuffleOpEfEvPT2_S3_b,comdat
.Lfunc_end27:
	.size	_Z20warp_exchange_kernelILj2ELj16EN6common25StripedToBlockedShuffleOpEfEvPT2_S3_b, .Lfunc_end27-_Z20warp_exchange_kernelILj2ELj16EN6common25StripedToBlockedShuffleOpEfEvPT2_S3_b
                                        ; -- End function
	.section	.AMDGPU.csdata,"",@progbits
; Kernel info:
; codeLenInByte = 248
; NumSgprs: 14
; NumVgprs: 9
; NumAgprs: 0
; TotalNumVgprs: 9
; ScratchSize: 0
; MemoryBound: 0
; FloatMode: 240
; IeeeMode: 1
; LDSByteSize: 0 bytes/workgroup (compile time only)
; SGPRBlocks: 1
; VGPRBlocks: 1
; NumSGPRsForWavesPerEU: 14
; NumVGPRsForWavesPerEU: 9
; AccumOffset: 12
; Occupancy: 8
; WaveLimiterHint : 0
; COMPUTE_PGM_RSRC2:SCRATCH_EN: 0
; COMPUTE_PGM_RSRC2:USER_SGPR: 2
; COMPUTE_PGM_RSRC2:TRAP_HANDLER: 0
; COMPUTE_PGM_RSRC2:TGID_X_EN: 1
; COMPUTE_PGM_RSRC2:TGID_Y_EN: 0
; COMPUTE_PGM_RSRC2:TGID_Z_EN: 0
; COMPUTE_PGM_RSRC2:TIDIG_COMP_CNT: 0
; COMPUTE_PGM_RSRC3_GFX90A:ACCUM_OFFSET: 2
; COMPUTE_PGM_RSRC3_GFX90A:TG_SPLIT: 0
	.section	.text._Z20warp_exchange_kernelILj64ELj16EN6common25BlockedToStripedShuffleOpE12hip_bfloat16EvPT2_S4_b,"axG",@progbits,_Z20warp_exchange_kernelILj64ELj16EN6common25BlockedToStripedShuffleOpE12hip_bfloat16EvPT2_S4_b,comdat
	.protected	_Z20warp_exchange_kernelILj64ELj16EN6common25BlockedToStripedShuffleOpE12hip_bfloat16EvPT2_S4_b ; -- Begin function _Z20warp_exchange_kernelILj64ELj16EN6common25BlockedToStripedShuffleOpE12hip_bfloat16EvPT2_S4_b
	.globl	_Z20warp_exchange_kernelILj64ELj16EN6common25BlockedToStripedShuffleOpE12hip_bfloat16EvPT2_S4_b
	.p2align	8
	.type	_Z20warp_exchange_kernelILj64ELj16EN6common25BlockedToStripedShuffleOpE12hip_bfloat16EvPT2_S4_b,@function
_Z20warp_exchange_kernelILj64ELj16EN6common25BlockedToStripedShuffleOpE12hip_bfloat16EvPT2_S4_b: ; @_Z20warp_exchange_kernelILj64ELj16EN6common25BlockedToStripedShuffleOpE12hip_bfloat16EvPT2_S4_b
; %bb.0:
	s_load_dwordx4 s[4:7], s[0:1], 0x0
	s_load_dword s2, s[0:1], 0x10
	v_lshlrev_b32_e32 v1, 7, v0
	v_lshlrev_b32_e32 v0, 6, v0
	s_waitcnt lgkmcnt(0)
	global_load_dwordx4 v[26:29], v1, s[4:5]
	global_load_dwordx4 v[18:21], v1, s[4:5] offset:16
	global_load_dwordx4 v[14:17], v1, s[4:5] offset:32
	;; [unrolled: 1-line block ×7, first 2 shown]
	v_mbcnt_lo_u32_b32 v1, -1, 0
	v_mbcnt_hi_u32_b32 v1, -1, v1
	s_bitcmp0_b32 s2, 0
	s_waitcnt vmcnt(7)
	v_lshrrev_b32_e32 v123, 16, v26
	v_lshrrev_b32_e32 v121, 16, v27
	v_lshrrev_b32_e32 v122, 16, v28
	v_lshrrev_b32_e32 v120, 16, v29
	v_and_b32_e32 v125, 0xffff, v27
	v_and_b32_e32 v124, 0xffff, v29
	s_waitcnt vmcnt(6)
	v_lshrrev_b32_e32 v117, 16, v18
	v_lshrrev_b32_e32 v115, 16, v19
	v_lshrrev_b32_e32 v116, 16, v20
	v_lshrrev_b32_e32 v114, 16, v21
	v_and_b32_e32 v119, 0xffff, v19
	v_and_b32_e32 v118, 0xffff, v21
	;; [unrolled: 7-line block ×8, first 2 shown]
	s_cbranch_scc0 .LBB28_2
; %bb.1:
	v_mov_b32_dpp v23, v123 quad_perm:[3,0,1,2] row_mask:0xf bank_mask:0xf
	v_mov_b32_dpp v25, v125 quad_perm:[2,3,0,1] row_mask:0xf bank_mask:0xf
	;; [unrolled: 1-line block ×6, first 2 shown]
	s_mov_b32 s0, 0x5040100
	v_perm_b32 v37, v35, v34, s0
	v_perm_b32 v35, v31, v25, s0
	;; [unrolled: 1-line block ×4, first 2 shown]
	scratch_store_dwordx4 off, v[34:37], off
	v_mov_b32_dpp v23, v117 quad_perm:[3,0,1,2] row_mask:0xf bank_mask:0xf
	v_mov_b32_dpp v25, v119 quad_perm:[2,3,0,1] row_mask:0xf bank_mask:0xf
	v_mov_b32_dpp v31, v115 quad_perm:[1,2,3,0] row_mask:0xf bank_mask:0xf
	v_mov_b32_dpp v33, v116 quad_perm:[3,0,1,2] row_mask:0xf bank_mask:0xf
	v_mov_b32_dpp v34, v118 quad_perm:[2,3,0,1] row_mask:0xf bank_mask:0xf
	v_mov_b32_dpp v35, v114 quad_perm:[1,2,3,0] row_mask:0xf bank_mask:0xf
	v_perm_b32 v37, v35, v34, s0
	v_perm_b32 v35, v31, v25, s0
	v_perm_b32 v36, v33, v20, s0
	v_perm_b32 v34, v23, v18, s0
	scratch_store_dwordx4 off, v[34:37], off offset:16
	v_mov_b32_dpp v23, v111 quad_perm:[3,0,1,2] row_mask:0xf bank_mask:0xf
	v_mov_b32_dpp v25, v113 quad_perm:[2,3,0,1] row_mask:0xf bank_mask:0xf
	v_mov_b32_dpp v31, v109 quad_perm:[1,2,3,0] row_mask:0xf bank_mask:0xf
	v_mov_b32_dpp v33, v110 quad_perm:[3,0,1,2] row_mask:0xf bank_mask:0xf
	v_mov_b32_dpp v34, v112 quad_perm:[2,3,0,1] row_mask:0xf bank_mask:0xf
	v_mov_b32_dpp v35, v108 quad_perm:[1,2,3,0] row_mask:0xf bank_mask:0xf
	v_perm_b32 v37, v35, v34, s0
	v_perm_b32 v35, v31, v25, s0
	v_perm_b32 v36, v33, v16, s0
	v_perm_b32 v34, v23, v14, s0
	scratch_store_dwordx4 off, v[34:37], off offset:32
	;; [unrolled: 11-line block ×3, first 2 shown]
	v_mov_b32_dpp v25, v29 quad_perm:[2,3,0,1] row_mask:0xf bank_mask:0xf
	v_mov_b32_dpp v31, v17 quad_perm:[1,2,3,0] row_mask:0xf bank_mask:0xf
	;; [unrolled: 1-line block ×4, first 2 shown]
	v_perm_b32 v37, v35, v34, s0
	v_perm_b32 v35, v31, v25, s0
	v_and_b32_e32 v25, 3, v1
	v_mov_b32_e32 v38, 0
	v_lshl_or_b32 v31, v25, 1, v38
	v_mov_b32_dpp v23, v21 quad_perm:[3,0,1,2] row_mask:0xf bank_mask:0xf
	v_mov_b32_dpp v33, v19 quad_perm:[3,0,1,2] row_mask:0xf bank_mask:0xf
	scratch_load_ushort v39, v31, off
	scratch_load_ushort v40, v31, off offset:8
	scratch_load_ushort v41, v31, off offset:16
	;; [unrolled: 1-line block ×7, first 2 shown]
	v_perm_b32 v36, v33, v32, s0
	v_perm_b32 v34, v23, v30, s0
	scratch_store_dwordx4 off, v[34:37], off offset:96
	v_mov_b32_dpp v23, v9 quad_perm:[3,0,1,2] row_mask:0xf bank_mask:0xf
	v_mov_b32_dpp v33, v13 quad_perm:[2,3,0,1] row_mask:0xf bank_mask:0xf
	v_mov_b32_dpp v34, v5 quad_perm:[1,2,3,0] row_mask:0xf bank_mask:0xf
	v_mov_b32_dpp v35, v11 quad_perm:[2,3,0,1] row_mask:0xf bank_mask:0xf
	v_mov_b32_dpp v37, v3 quad_perm:[1,2,3,0] row_mask:0xf bank_mask:0xf
	v_perm_b32 v37, v37, v35, s0
	v_perm_b32 v35, v34, v33, s0
	;; [unrolled: 1-line block ×3, first 2 shown]
	v_add_u32_e32 v23, -1, v1
	v_and_b32_e32 v23, 3, v23
	v_mov_b32_dpp v36, v7 quad_perm:[3,0,1,2] row_mask:0xf bank_mask:0xf
	v_lshl_or_b32 v23, v23, 1, v38
	v_perm_b32 v36, v36, v24, s0
	scratch_load_ushort v47, v23, off
	scratch_load_ushort v48, v23, off offset:8
	scratch_load_ushort v49, v23, off offset:16
	;; [unrolled: 1-line block ×3, first 2 shown]
	v_mov_b32_dpp v54, v96 quad_perm:[1,2,3,0] row_mask:0xf bank_mask:0xf
	scratch_store_dwordx4 off, v[34:37], off offset:112
	scratch_load_ushort v51, v31, off offset:104
	scratch_load_ushort v52, v31, off offset:112
	;; [unrolled: 1-line block ×3, first 2 shown]
	v_mov_b32_dpp v37, v100 quad_perm:[2,3,0,1] row_mask:0xf bank_mask:0xf
	v_perm_b32 v37, v54, v37, s0
	scratch_load_ushort v54, v23, off offset:32
	v_mov_b32_dpp v33, v99 quad_perm:[3,0,1,2] row_mask:0xf bank_mask:0xf
	v_mov_b32_dpp v34, v101 quad_perm:[2,3,0,1] row_mask:0xf bank_mask:0xf
	;; [unrolled: 1-line block ×4, first 2 shown]
	v_perm_b32 v35, v35, v34, s0
	v_perm_b32 v36, v36, v8, s0
	v_perm_b32 v34, v33, v6, s0
	scratch_store_dwordx4 off, v[34:37], off offset:64
	v_mov_b32_dpp v33, v93 quad_perm:[3,0,1,2] row_mask:0xf bank_mask:0xf
	v_mov_b32_dpp v55, v90 quad_perm:[1,2,3,0] row_mask:0xf bank_mask:0xf
	;; [unrolled: 1-line block ×6, first 2 shown]
	v_perm_b32 v37, v55, v37, s0
	v_perm_b32 v35, v35, v34, s0
	;; [unrolled: 1-line block ×4, first 2 shown]
	scratch_store_dwordx4 off, v[34:37], off offset:80
	scratch_load_ushort v55, v31, off offset:64
	scratch_load_ushort v56, v31, off offset:72
	;; [unrolled: 1-line block ×16, first 2 shown]
	v_and_b32_e32 v31, 0x70, v1
	v_add_u32_e32 v23, 12, v1
	v_add_u32_e32 v35, 4, v1
	v_xor_b32_e32 v70, 2, v25
	v_and_or_b32 v23, v23, 15, v31
	v_lshlrev_b32_e32 v25, 2, v1
	v_and_or_b32 v31, v35, 15, v31
	v_lshlrev_b32_e32 v23, 2, v23
	v_xor_b32_e32 v25, 32, v25
	v_lshlrev_b32_e32 v31, 2, v31
	v_bfe_u32 v82, v1, 2, 2
	v_mov_b32_e32 v83, 0x80
	s_waitcnt vmcnt(34)
	ds_bpermute_b32 v40, v23, v40
	s_waitcnt vmcnt(33)
	ds_bpermute_b32 v34, v25, v41
	;; [unrolled: 2-line block ×6, first 2 shown]
	v_lshl_or_b32 v44, v70, 1, v38
	v_add_u32_e32 v70, 3, v70
	s_waitcnt lgkmcnt(0)
	v_perm_b32 v37, v36, v35, s0
	v_perm_b32 v35, v41, v34, s0
	;; [unrolled: 1-line block ×4, first 2 shown]
	scratch_load_ushort v39, v44, off
	scratch_load_ushort v40, v44, off offset:8
	scratch_load_ushort v41, v44, off offset:16
	;; [unrolled: 1-line block ×7, first 2 shown]
	s_waitcnt vmcnt(34)
	v_mov_b32_dpp v47, v47 quad_perm:[1,2,3,0] row_mask:0xf bank_mask:0xf
	s_waitcnt vmcnt(33)
	v_mov_b32_dpp v48, v48 quad_perm:[1,2,3,0] row_mask:0xf bank_mask:0xf
	;; [unrolled: 2-line block ×4, first 2 shown]
	scratch_store_dwordx4 off, v[34:37], off offset:128
	s_waitcnt vmcnt(30)
	ds_bpermute_b32 v34, v23, v51
	s_waitcnt vmcnt(29)
	ds_bpermute_b32 v35, v25, v52
	v_and_b32_e32 v36, 0xffff, v48
	v_and_b32_e32 v37, 0xffff, v49
	ds_bpermute_b32 v36, v23, v36
	ds_bpermute_b32 v37, v25, v37
	v_and_b32_e32 v49, 0xffff, v50
	s_waitcnt vmcnt(28)
	ds_bpermute_b32 v48, v31, v53
	ds_bpermute_b32 v49, v31, v49
	s_waitcnt lgkmcnt(4)
	v_perm_b32 v34, v35, v34, s0
	s_waitcnt vmcnt(23)
	ds_bpermute_b32 v56, v23, v56
	s_waitcnt vmcnt(22)
	ds_bpermute_b32 v57, v25, v57
	;; [unrolled: 2-line block ×3, first 2 shown]
	s_waitcnt lgkmcnt(5)
	v_perm_b32 v36, v37, v36, s0
	v_mov_b32_dpp v37, v54 quad_perm:[1,2,3,0] row_mask:0xf bank_mask:0xf
	s_waitcnt lgkmcnt(4)
	v_perm_b32 v35, v47, v48, s0
	s_waitcnt lgkmcnt(3)
	v_perm_b32 v37, v37, v49, s0
	v_and_b32_e32 v49, 3, v70
	v_lshlrev_b32_e32 v54, 1, v70
	scratch_load_ushort v47, v44, off offset:64
	scratch_load_ushort v48, v44, off offset:72
	;; [unrolled: 1-line block ×7, first 2 shown]
	s_nop 0
	scratch_load_ushort v44, v44, off offset:120
	v_lshl_or_b32 v49, v49, 1, v38
	v_or3_b32 v38, v54, v38, 8
	v_or_b32_e32 v70, 24, v54
	scratch_store_dwordx4 off, v[34:37], off offset:154
	s_waitcnt vmcnt(17)
	v_mov_b32_dpp v39, v39 quad_perm:[2,3,0,1] row_mask:0xf bank_mask:0xf
	v_or_b32_e32 v34, 40, v54
	v_or_b32_e32 v35, 56, v54
	;; [unrolled: 1-line block ×4, first 2 shown]
	scratch_load_ushort v38, v38, off
	s_nop 0
	scratch_load_ushort v70, v70, off
	s_nop 0
	scratch_load_ushort v73, v34, off
	scratch_load_ushort v74, v35, off
	;; [unrolled: 1-line block ×4, first 2 shown]
	s_waitcnt lgkmcnt(0)
	v_perm_b32 v35, v58, v57, s0
	v_perm_b32 v34, v56, v55, s0
	v_mov_b32_dpp v36, v59 quad_perm:[1,2,3,0] row_mask:0xf bank_mask:0xf
	v_mov_b32_dpp v37, v60 quad_perm:[1,2,3,0] row_mask:0xf bank_mask:0xf
	;; [unrolled: 1-line block ×5, first 2 shown]
	scratch_store_dwordx2 off, v[34:35], off offset:144
	v_and_b32_e32 v34, 0xffff, v36
	v_and_b32_e32 v35, 0xffff, v37
	ds_bpermute_b32 v34, v23, v34
	v_and_b32_e32 v36, 0xffff, v57
	v_and_b32_e32 v37, 0xffff, v58
	ds_bpermute_b32 v35, v25, v35
	v_and_b32_e32 v57, 0xffff, v59
	scratch_load_ushort v58, v49, off
	scratch_load_ushort v59, v49, off offset:16
	ds_bpermute_b32 v36, v23, v36
	ds_bpermute_b32 v37, v25, v37
	;; [unrolled: 1-line block ×3, first 2 shown]
	v_mov_b32_dpp v56, v61 quad_perm:[1,2,3,0] row_mask:0xf bank_mask:0xf
	v_and_b32_e32 v56, 0xffff, v56
	s_waitcnt lgkmcnt(3)
	v_perm_b32 v34, v35, v34, s0
	ds_bpermute_b32 v35, v31, v56
	scratch_load_ushort v56, v49, off offset:32
	v_mov_b32_dpp v60, v66 quad_perm:[1,2,3,0] row_mask:0xf bank_mask:0xf
	s_waitcnt lgkmcnt(2)
	v_perm_b32 v36, v37, v36, s0
	s_waitcnt lgkmcnt(1)
	v_perm_b32 v37, v60, v57, s0
	scratch_load_ushort v57, v49, off offset:48
	scratch_load_ushort v61, v49, off offset:64
	v_or_b32_e32 v55, 0x68, v54
	v_mov_b32_dpp v60, v62 quad_perm:[1,2,3,0] row_mask:0xf bank_mask:0xf
	s_waitcnt lgkmcnt(0)
	v_perm_b32 v35, v60, v35, s0
	scratch_load_ushort v60, v49, off offset:80
	scratch_load_ushort v62, v49, off offset:96
	s_nop 0
	scratch_load_ushort v49, v49, off offset:112
	s_nop 0
	scratch_load_ushort v55, v55, off
	v_or_b32_e32 v54, 0x78, v54
	scratch_load_ushort v54, v54, off
	v_mov_b32_dpp v63, v67 quad_perm:[1,2,3,0] row_mask:0xf bank_mask:0xf
	v_mov_b32_dpp v64, v68 quad_perm:[1,2,3,0] row_mask:0xf bank_mask:0xf
	;; [unrolled: 1-line block ×3, first 2 shown]
	s_waitcnt vmcnt(33)
	v_mov_b32_dpp v40, v40 quad_perm:[2,3,0,1] row_mask:0xf bank_mask:0xf
	s_waitcnt vmcnt(32)
	v_mov_b32_dpp v41, v41 quad_perm:[2,3,0,1] row_mask:0xf bank_mask:0xf
	s_waitcnt vmcnt(31)
	v_mov_b32_dpp v42, v42 quad_perm:[2,3,0,1] row_mask:0xf bank_mask:0xf
	scratch_store_short off, v33, off offset:152
	v_and_b32_e32 v33, 0xffff, v63
	v_and_b32_e32 v63, 0xffff, v64
	;; [unrolled: 1-line block ×6, first 2 shown]
	ds_bpermute_b32 v33, v23, v33
	ds_bpermute_b32 v63, v25, v63
	;; [unrolled: 1-line block ×6, first 2 shown]
	s_waitcnt vmcnt(31)
	v_mov_b32_dpp v43, v43 quad_perm:[2,3,0,1] row_mask:0xf bank_mask:0xf
	s_waitcnt vmcnt(30)
	v_mov_b32_dpp v45, v45 quad_perm:[2,3,0,1] row_mask:0xf bank_mask:0xf
	;; [unrolled: 2-line block ×6, first 2 shown]
	scratch_store_dwordx4 off, v[34:37], off offset:170
	s_waitcnt vmcnt(24)
	v_mov_b32_dpp v51, v51 quad_perm:[2,3,0,1] row_mask:0xf bank_mask:0xf
	v_mov_b32_dpp v47, v47 quad_perm:[2,3,0,1] row_mask:0xf bank_mask:0xf
	s_waitcnt lgkmcnt(2)
	v_perm_b32 v36, v41, v40, s0
	v_perm_b32 v34, v63, v33, s0
	s_waitcnt lgkmcnt(1)
	v_perm_b32 v37, v43, v42, s0
	s_waitcnt lgkmcnt(0)
	v_perm_b32 v35, v39, v64, s0
	v_and_b32_e32 v33, 0xffff, v45
	v_and_b32_e32 v39, 0xffff, v46
	;; [unrolled: 1-line block ×5, first 2 shown]
	ds_bpermute_b32 v33, v23, v33
	ds_bpermute_b32 v39, v25, v39
	;; [unrolled: 1-line block ×5, first 2 shown]
	s_waitcnt vmcnt(22)
	v_mov_b32_dpp v53, v53 quad_perm:[2,3,0,1] row_mask:0xf bank_mask:0xf
	s_waitcnt vmcnt(21)
	v_mov_b32_dpp v67, v72 quad_perm:[2,3,0,1] row_mask:0xf bank_mask:0xf
	s_waitcnt vmcnt(20)
	v_mov_b32_dpp v44, v44 quad_perm:[2,3,0,1] row_mask:0xf bank_mask:0xf
	s_waitcnt vmcnt(18)
	v_mov_b32_dpp v38, v38 quad_perm:[3,0,1,2] row_mask:0xf bank_mask:0xf
	s_waitcnt vmcnt(17)
	v_mov_b32_dpp v68, v70 quad_perm:[3,0,1,2] row_mask:0xf bank_mask:0xf
	v_and_b32_e32 v43, 0xffff, v51
	ds_bpermute_b32 v43, v31, v43
	scratch_store_dwordx4 off, v[34:37], off offset:186
	v_and_b32_e32 v38, 0xffff, v38
	ds_bpermute_b32 v38, v23, v38
	s_waitcnt lgkmcnt(3)
	v_perm_b32 v36, v42, v41, s0
	v_perm_b32 v34, v39, v33, s0
	s_waitcnt lgkmcnt(2)
	v_perm_b32 v35, v47, v40, s0
	v_and_b32_e32 v33, 0xffff, v53
	v_and_b32_e32 v39, 0xffff, v67
	;; [unrolled: 1-line block ×4, first 2 shown]
	ds_bpermute_b32 v33, v23, v33
	s_waitcnt vmcnt(11)
	v_mov_b32_dpp v59, v59 quad_perm:[3,0,1,2] row_mask:0xf bank_mask:0xf
	v_and_b32_e32 v41, 0xffff, v59
	ds_bpermute_b32 v39, v25, v39
	ds_bpermute_b32 v40, v31, v40
	ds_bpermute_b32 v41, v25, v41
	ds_bpermute_b32 v42, v31, v42
	v_mov_b32_dpp v52, v52 quad_perm:[2,3,0,1] row_mask:0xf bank_mask:0xf
	v_mov_b32_dpp v58, v58 quad_perm:[3,0,1,2] row_mask:0xf bank_mask:0xf
	s_waitcnt vmcnt(10)
	v_mov_b32_dpp v56, v56 quad_perm:[3,0,1,2] row_mask:0xf bank_mask:0xf
	s_waitcnt lgkmcnt(6)
	v_perm_b32 v37, v52, v43, s0
	v_mov_b32_dpp v69, v73 quad_perm:[3,0,1,2] row_mask:0xf bank_mask:0xf
	v_mov_b32_dpp v71, v75 quad_perm:[3,0,1,2] row_mask:0xf bank_mask:0xf
	s_waitcnt vmcnt(9)
	v_mov_b32_dpp v57, v57 quad_perm:[3,0,1,2] row_mask:0xf bank_mask:0xf
	scratch_store_dwordx4 off, v[34:37], off offset:202
	s_waitcnt vmcnt(8)
	v_mov_b32_dpp v60, v60 quad_perm:[3,0,1,2] row_mask:0xf bank_mask:0xf
	v_mov_b32_dpp v70, v74 quad_perm:[3,0,1,2] row_mask:0xf bank_mask:0xf
	s_waitcnt lgkmcnt(3)
	v_perm_b32 v34, v39, v33, s0
	s_waitcnt lgkmcnt(1)
	v_perm_b32 v36, v41, v38, s0
	v_perm_b32 v35, v58, v40, s0
	s_waitcnt lgkmcnt(0)
	v_perm_b32 v37, v56, v42, s0
	scratch_store_dwordx4 off, v[34:37], off offset:218
	v_and_b32_e32 v33, 0xffff, v69
	ds_bpermute_b32 v33, v23, v33
	v_and_b32_e32 v34, 0xffff, v57
	v_and_b32_e32 v35, 0xffff, v71
	;; [unrolled: 1-line block ×3, first 2 shown]
	ds_bpermute_b32 v34, v25, v34
	ds_bpermute_b32 v35, v23, v35
	;; [unrolled: 1-line block ×3, first 2 shown]
	v_mov_b32_dpp v72, v76 quad_perm:[3,0,1,2] row_mask:0xf bank_mask:0xf
	s_waitcnt vmcnt(6)
	v_mov_b32_dpp v55, v55 quad_perm:[3,0,1,2] row_mask:0xf bank_mask:0xf
	v_mov_b32_dpp v49, v49 quad_perm:[3,0,1,2] row_mask:0xf bank_mask:0xf
	v_and_b32_e32 v37, 0xffff, v70
	s_waitcnt vmcnt(5)
	v_mov_b32_dpp v54, v54 quad_perm:[3,0,1,2] row_mask:0xf bank_mask:0xf
	ds_bpermute_b32 v38, v31, v37
	v_and_b32_e32 v37, 0xffff, v72
	s_waitcnt lgkmcnt(1)
	v_perm_b32 v36, v36, v35, s0
	v_perm_b32 v34, v34, v33, s0
	v_and_b32_e32 v33, 0xffff, v55
	v_and_b32_e32 v35, 0xffff, v49
	ds_bpermute_b32 v37, v31, v37
	ds_bpermute_b32 v33, v23, v33
	ds_bpermute_b32 v39, v25, v35
	v_and_b32_e32 v35, 0xffff, v54
	ds_bpermute_b32 v40, v31, v35
	v_mov_b32_dpp v61, v61 quad_perm:[3,0,1,2] row_mask:0xf bank_mask:0xf
	v_mov_b32_dpp v62, v62 quad_perm:[3,0,1,2] row_mask:0xf bank_mask:0xf
	s_waitcnt lgkmcnt(3)
	v_perm_b32 v37, v62, v37, s0
	v_perm_b32 v35, v61, v38, s0
	s_waitcnt lgkmcnt(1)
	v_perm_b32 v33, v39, v33, s0
	scratch_store_dwordx4 off, v[34:37], off offset:234
	s_waitcnt lgkmcnt(0)
	scratch_store_short off, v40, off offset:254
	scratch_store_dword off, v33, off offset:250
	v_lshrrev_b32_e32 v33, 2, v1
	v_add_u32_e32 v33, -1, v33
	v_and_b32_e32 v33, 3, v33
	v_xor_b32_e32 v42, 2, v82
	v_lshl_or_b32 v33, v33, 1, v83
	v_lshl_or_b32 v43, v42, 1, v83
	scratch_load_ushort v34, v33, off
	scratch_load_ushort v35, v33, off offset:8
	scratch_load_ushort v36, v33, off offset:16
	;; [unrolled: 1-line block ×14, first 2 shown]
	s_nop 0
	scratch_load_ushort v33, v33, off offset:120
	s_nop 0
	scratch_load_ushort v54, v43, off
	scratch_load_ushort v55, v43, off offset:8
	scratch_load_ushort v56, v43, off offset:16
	;; [unrolled: 1-line block ×15, first 2 shown]
	v_add_u32_e32 v42, 3, v42
	v_and_b32_e32 v43, 3, v42
	v_lshlrev_b32_e32 v71, 1, v42
	v_lshl_or_b32 v70, v43, 1, v83
	s_waitcnt vmcnt(31)
	ds_bpermute_b32 v34, v31, v34
	s_waitcnt vmcnt(30)
	ds_bpermute_b32 v35, v31, v35
	;; [unrolled: 2-line block ×11, first 2 shown]
	ds_bpermute_b32 v39, v31, v47
	ds_bpermute_b32 v40, v31, v48
	s_waitcnt vmcnt(3)
	ds_bpermute_b32 v62, v25, v66
	v_or3_b32 v66, v71, v83, 8
	ds_bpermute_b32 v41, v31, v49
	ds_bpermute_b32 v50, v31, v50
	;; [unrolled: 1-line block ×15, first 2 shown]
	s_waitcnt vmcnt(2)
	ds_bpermute_b32 v63, v25, v67
	s_waitcnt vmcnt(1)
	ds_bpermute_b32 v64, v25, v68
	;; [unrolled: 2-line block ×3, first 2 shown]
	scratch_load_ushort v25, v70, off
	scratch_load_ushort v31, v70, off offset:16
	scratch_load_ushort v33, v70, off offset:32
	;; [unrolled: 1-line block ×7, first 2 shown]
	scratch_load_ushort v67, v66, off
	v_or_b32_e32 v66, 24, v71
	scratch_load_ushort v69, v66, off offset:128
	v_or_b32_e32 v66, 40, v71
	scratch_load_ushort v70, v66, off offset:128
	;; [unrolled: 2-line block ×7, first 2 shown]
	s_waitcnt vmcnt(15)
	ds_bpermute_b32 v66, v23, v25
	s_waitcnt vmcnt(14)
	ds_bpermute_b32 v68, v23, v31
	;; [unrolled: 2-line block ×10, first 2 shown]
	ds_bpermute_b32 v70, v23, v73
	s_waitcnt vmcnt(4)
	ds_bpermute_b32 v77, v23, v77
	s_waitcnt vmcnt(3)
	;; [unrolled: 2-line block ×5, first 2 shown]
	ds_bpermute_b32 v81, v23, v86
	v_lshl_or_b32 v23, v82, 1, v83
	scratch_load_ushort v25, v23, off
	scratch_load_ushort v31, v23, off offset:8
	scratch_load_ushort v33, v23, off offset:16
	scratch_load_ushort v83, v23, off offset:24
	scratch_load_ushort v84, v23, off offset:32
	scratch_load_ushort v85, v23, off offset:40
	scratch_load_ushort v86, v23, off offset:48
	scratch_load_ushort v87, v23, off offset:56
	s_waitcnt vmcnt(6)
	v_perm_b32 v82, v31, v25, s0
	s_waitcnt vmcnt(4)
	v_perm_b32 v83, v83, v33, s0
	;; [unrolled: 2-line block ×4, first 2 shown]
	scratch_load_ushort v25, v23, off offset:64
	scratch_load_ushort v31, v23, off offset:72
	;; [unrolled: 1-line block ×7, first 2 shown]
	s_nop 0
	scratch_load_ushort v23, v23, off offset:120
	s_waitcnt vmcnt(6)
	v_perm_b32 v86, v31, v25, s0
	s_waitcnt vmcnt(4)
	v_perm_b32 v87, v87, v33, s0
	;; [unrolled: 2-line block ×4, first 2 shown]
	s_cbranch_execz .LBB28_3
	s_branch .LBB28_4
.LBB28_2:
                                        ; implicit-def: $vgpr89
                                        ; implicit-def: $vgpr85
                                        ; implicit-def: $vgpr78_vgpr79_vgpr80_vgpr81
                                        ; implicit-def: $vgpr70_vgpr71_vgpr72_vgpr73
                                        ; implicit-def: $vgpr74_vgpr75_vgpr76_vgpr77
                                        ; implicit-def: $vgpr66_vgpr67_vgpr68_vgpr69
                                        ; implicit-def: $vgpr62_vgpr63_vgpr64_vgpr65
                                        ; implicit-def: $vgpr54_vgpr55_vgpr56_vgpr57
                                        ; implicit-def: $vgpr58_vgpr59_vgpr60_vgpr61
                                        ; implicit-def: $vgpr46_vgpr47_vgpr48_vgpr49
                                        ; implicit-def: $vgpr50_vgpr51_vgpr52_vgpr53
                                        ; implicit-def: $vgpr38_vgpr39_vgpr40_vgpr41
                                        ; implicit-def: $vgpr42_vgpr43_vgpr44_vgpr45
                                        ; implicit-def: $vgpr34_vgpr35_vgpr36_vgpr37
.LBB28_3:
	v_mov_b32_dpp v23, v123 quad_perm:[3,0,1,2] row_mask:0xf bank_mask:0xf
	v_mov_b32_dpp v25, v125 quad_perm:[2,3,0,1] row_mask:0xf bank_mask:0xf
	;; [unrolled: 1-line block ×4, first 2 shown]
	s_waitcnt lgkmcnt(14)
	v_mov_b32_dpp v34, v124 quad_perm:[2,3,0,1] row_mask:0xf bank_mask:0xf
	v_mov_b32_dpp v35, v120 quad_perm:[1,2,3,0] row_mask:0xf bank_mask:0xf
	s_mov_b32 s0, 0x5040100
	v_perm_b32 v37, v35, v34, s0
	v_perm_b32 v35, v31, v25, s0
	;; [unrolled: 1-line block ×4, first 2 shown]
	v_mov_b32_dpp v23, v117 quad_perm:[3,0,1,2] row_mask:0xf bank_mask:0xf
	v_mov_b32_dpp v25, v119 quad_perm:[2,3,0,1] row_mask:0xf bank_mask:0xf
	v_mov_b32_dpp v26, v115 quad_perm:[1,2,3,0] row_mask:0xf bank_mask:0xf
	v_mov_b32_dpp v28, v116 quad_perm:[3,0,1,2] row_mask:0xf bank_mask:0xf
	v_mov_b32_dpp v31, v118 quad_perm:[2,3,0,1] row_mask:0xf bank_mask:0xf
	v_mov_b32_dpp v33, v114 quad_perm:[1,2,3,0] row_mask:0xf bank_mask:0xf
	scratch_store_dwordx4 off, v[34:37], off
	v_mov_b32_dpp v7, v7 quad_perm:[3,0,1,2] row_mask:0xf bank_mask:0xf
	v_mov_b32_dpp v3, v3 quad_perm:[1,2,3,0] row_mask:0xf bank_mask:0xf
	v_perm_b32 v37, v33, v31, s0
	v_perm_b32 v35, v26, v25, s0
	v_perm_b32 v36, v28, v20, s0
	v_perm_b32 v34, v23, v18, s0
	v_mov_b32_dpp v18, v111 quad_perm:[3,0,1,2] row_mask:0xf bank_mask:0xf
	v_mov_b32_dpp v20, v113 quad_perm:[2,3,0,1] row_mask:0xf bank_mask:0xf
	v_mov_b32_dpp v23, v109 quad_perm:[1,2,3,0] row_mask:0xf bank_mask:0xf
	v_mov_b32_dpp v25, v110 quad_perm:[3,0,1,2] row_mask:0xf bank_mask:0xf
	v_mov_b32_dpp v26, v112 quad_perm:[2,3,0,1] row_mask:0xf bank_mask:0xf
	v_mov_b32_dpp v28, v108 quad_perm:[1,2,3,0] row_mask:0xf bank_mask:0xf
	scratch_store_dwordx4 off, v[34:37], off offset:16
	s_nop 1
	v_perm_b32 v37, v28, v26, s0
	v_perm_b32 v35, v23, v20, s0
	v_perm_b32 v36, v25, v16, s0
	v_perm_b32 v34, v18, v14, s0
	v_mov_b32_dpp v14, v105 quad_perm:[3,0,1,2] row_mask:0xf bank_mask:0xf
	v_mov_b32_dpp v16, v107 quad_perm:[2,3,0,1] row_mask:0xf bank_mask:0xf
	v_mov_b32_dpp v18, v103 quad_perm:[1,2,3,0] row_mask:0xf bank_mask:0xf
	v_mov_b32_dpp v20, v104 quad_perm:[3,0,1,2] row_mask:0xf bank_mask:0xf
	v_mov_b32_dpp v23, v106 quad_perm:[2,3,0,1] row_mask:0xf bank_mask:0xf
	v_mov_b32_dpp v25, v102 quad_perm:[1,2,3,0] row_mask:0xf bank_mask:0xf
	scratch_store_dwordx4 off, v[34:37], off offset:32
	s_nop 1
	;; [unrolled: 12-line block ×3, first 2 shown]
	v_perm_b32 v37, v20, v18, s0
	v_perm_b32 v35, v14, v12, s0
	v_perm_b32 v36, v16, v8, s0
	v_perm_b32 v34, v10, v6, s0
	v_mov_b32_dpp v6, v93 quad_perm:[3,0,1,2] row_mask:0xf bank_mask:0xf
	v_mov_b32_dpp v12, v92 quad_perm:[3,0,1,2] row_mask:0xf bank_mask:0xf
	scratch_store_dwordx4 off, v[34:37], off offset:64
	v_mov_b32_dpp v14, v94 quad_perm:[2,3,0,1] row_mask:0xf bank_mask:0xf
	v_mov_b32_dpp v16, v90 quad_perm:[1,2,3,0] row_mask:0xf bank_mask:0xf
	v_perm_b32 v36, v12, v4, s0
	v_perm_b32 v34, v6, v2, s0
	v_mov_b32_dpp v2, v21 quad_perm:[3,0,1,2] row_mask:0xf bank_mask:0xf
	v_mov_b32_dpp v4, v29 quad_perm:[2,3,0,1] row_mask:0xf bank_mask:0xf
	;; [unrolled: 1-line block ×3, first 2 shown]
	v_perm_b32 v37, v16, v14, s0
	v_mov_b32_dpp v12, v15 quad_perm:[1,2,3,0] row_mask:0xf bank_mask:0xf
	v_perm_b32 v15, v6, v4, s0
	v_perm_b32 v14, v2, v30, s0
	v_mov_b32_dpp v2, v9 quad_perm:[3,0,1,2] row_mask:0xf bank_mask:0xf
	v_mov_b32_dpp v4, v13 quad_perm:[2,3,0,1] row_mask:0xf bank_mask:0xf
	;; [unrolled: 1-line block ×6, first 2 shown]
	v_perm_b32 v5, v3, v5, s0
	v_perm_b32 v3, v6, v4, s0
	;; [unrolled: 1-line block ×5, first 2 shown]
	v_mov_b32_dpp v8, v19 quad_perm:[3,0,1,2] row_mask:0xf bank_mask:0xf
	v_mov_b32_dpp v10, v27 quad_perm:[2,3,0,1] row_mask:0xf bank_mask:0xf
	scratch_store_dwordx4 off, v[2:5], off offset:112
	v_perm_b32 v17, v12, v10, s0
	v_perm_b32 v16, v8, v32, s0
	v_add_u32_e32 v4, -1, v1
	v_mov_b32_e32 v3, 0
	v_and_b32_e32 v4, 3, v4
	scratch_store_dwordx4 off, v[34:37], off offset:80
	scratch_store_dwordx4 off, v[14:17], off offset:96
	v_lshl_or_b32 v4, v4, 1, v3
	scratch_load_ushort v5, v4, off
	scratch_load_ushort v6, v4, off offset:8
	scratch_load_ushort v7, v4, off offset:16
	;; [unrolled: 1-line block ×14, first 2 shown]
	s_nop 0
	scratch_load_ushort v4, v4, off offset:120
	v_and_b32_e32 v2, 3, v1
	v_xor_b32_e32 v20, 2, v2
	v_lshl_or_b32 v21, v20, 1, v3
	v_add_u32_e32 v20, 3, v20
	v_and_b32_e32 v37, 3, v20
	v_lshlrev_b32_e32 v20, 1, v20
	v_lshl_or_b32 v37, v37, 1, v3
	v_or3_b32 v38, v20, v3, 8
	v_or_b32_e32 v39, 24, v20
	v_or_b32_e32 v40, 40, v20
	;; [unrolled: 1-line block ×7, first 2 shown]
	v_lshl_or_b32 v2, v2, 1, v3
	scratch_load_ushort v22, v21, off
	scratch_load_ushort v23, v21, off offset:8
	scratch_load_ushort v24, v21, off offset:16
	;; [unrolled: 1-line block ×14, first 2 shown]
	s_nop 0
	scratch_load_ushort v21, v21, off offset:120
	s_nop 0
	scratch_load_ushort v41, v37, off
	scratch_load_ushort v42, v37, off offset:16
	scratch_load_ushort v43, v37, off offset:32
	scratch_load_ushort v44, v37, off offset:48
	v_add_u32_e32 v3, 12, v1
	scratch_load_ushort v38, v38, off
	s_nop 0
	scratch_load_ushort v39, v39, off
	s_nop 0
	;; [unrolled: 2-line block ×6, first 2 shown]
	scratch_load_ushort v48, v37, off offset:64
	scratch_load_ushort v50, v37, off offset:80
	;; [unrolled: 1-line block ×4, first 2 shown]
                                        ; kill: killed $vgpr37
	s_nop 0
	scratch_load_ushort v37, v49, off
	s_waitcnt vmcnt(46)
	v_mov_b32_dpp v5, v5 quad_perm:[1,2,3,0] row_mask:0xf bank_mask:0xf
	scratch_load_ushort v20, v20, off
	s_nop 0
	scratch_load_ushort v49, v2, off offset:16
	scratch_load_ushort v53, v2, off offset:48
	;; [unrolled: 1-line block ×10, first 2 shown]
	scratch_load_ushort v62, v2, off
	scratch_load_ushort v63, v2, off offset:64
	scratch_load_ushort v64, v2, off offset:96
	;; [unrolled: 1-line block ×4, first 2 shown]
	s_waitcnt lgkmcnt(8)
	scratch_load_ushort v67, v2, off offset:120
	v_and_b32_e32 v2, 0x70, v1
	s_waitcnt vmcnt(62)
	v_mov_b32_dpp v68, v6 quad_perm:[1,2,3,0] row_mask:0xf bank_mask:0xf
	v_and_or_b32 v6, v3, 15, v2
	v_lshlrev_b32_e32 v3, 2, v1
	v_xor_b32_e32 v3, 32, v3
	s_waitcnt vmcnt(61) lgkmcnt(7)
	v_mov_b32_dpp v69, v7 quad_perm:[1,2,3,0] row_mask:0xf bank_mask:0xf
	s_waitcnt vmcnt(60) lgkmcnt(5)
	v_mov_b32_dpp v70, v8 quad_perm:[1,2,3,0] row_mask:0xf bank_mask:0xf
	;; [unrolled: 2-line block ×3, first 2 shown]
	s_waitcnt vmcnt(58)
	v_mov_b32_dpp v10, v10 quad_perm:[1,2,3,0] row_mask:0xf bank_mask:0xf
	s_waitcnt vmcnt(57)
	v_mov_b32_dpp v11, v11 quad_perm:[1,2,3,0] row_mask:0xf bank_mask:0xf
	;; [unrolled: 2-line block ×5, first 2 shown]
	v_add_u32_e32 v4, 4, v1
	v_and_or_b32 v2, v4, 15, v2
	v_lshlrev_b32_e32 v4, 2, v2
	v_lshlrev_b32_e32 v2, 2, v6
	v_mov_b32_dpp v15, v15 quad_perm:[1,2,3,0] row_mask:0xf bank_mask:0xf
	v_mov_b32_dpp v16, v16 quad_perm:[1,2,3,0] row_mask:0xf bank_mask:0xf
	;; [unrolled: 1-line block ×5, first 2 shown]
	s_waitcnt vmcnt(46)
	v_mov_b32_dpp v23, v23 quad_perm:[2,3,0,1] row_mask:0xf bank_mask:0xf
	s_waitcnt vmcnt(45)
	v_mov_b32_dpp v24, v24 quad_perm:[2,3,0,1] row_mask:0xf bank_mask:0xf
	;; [unrolled: 2-line block ×3, first 2 shown]
	v_mov_b32_dpp v17, v17 quad_perm:[1,2,3,0] row_mask:0xf bank_mask:0xf
	v_mov_b32_dpp v22, v22 quad_perm:[2,3,0,1] row_mask:0xf bank_mask:0xf
	s_waitcnt vmcnt(43)
	v_mov_b32_dpp v26, v26 quad_perm:[2,3,0,1] row_mask:0xf bank_mask:0xf
	s_waitcnt vmcnt(42)
	;; [unrolled: 2-line block ×7, first 2 shown]
	v_mov_b32_dpp v33, v33 quad_perm:[2,3,0,1] row_mask:0xf bank_mask:0xf
	v_mov_b32_dpp v30, v30 quad_perm:[2,3,0,1] row_mask:0xf bank_mask:0xf
	s_waitcnt vmcnt(35)
	v_mov_b32_dpp v34, v34 quad_perm:[2,3,0,1] row_mask:0xf bank_mask:0xf
	s_waitcnt vmcnt(34)
	;; [unrolled: 2-line block ×5, first 2 shown]
	v_mov_b32_dpp v38, v38 quad_perm:[3,0,1,2] row_mask:0xf bank_mask:0xf
	v_mov_b32_dpp v42, v42 quad_perm:[3,0,1,2] row_mask:0xf bank_mask:0xf
	s_waitcnt vmcnt(26)
	v_mov_b32_dpp v39, v39 quad_perm:[3,0,1,2] row_mask:0xf bank_mask:0xf
	v_mov_b32_dpp v41, v41 quad_perm:[3,0,1,2] row_mask:0xf bank_mask:0xf
	;; [unrolled: 1-line block ×3, first 2 shown]
	s_waitcnt vmcnt(25)
	v_mov_b32_dpp v40, v40 quad_perm:[3,0,1,2] row_mask:0xf bank_mask:0xf
	v_mov_b32_dpp v44, v44 quad_perm:[3,0,1,2] row_mask:0xf bank_mask:0xf
	s_waitcnt vmcnt(23)
	v_mov_b32_dpp v46, v46 quad_perm:[3,0,1,2] row_mask:0xf bank_mask:0xf
	s_waitcnt vmcnt(20)
	v_mov_b32_dpp v50, v50 quad_perm:[3,0,1,2] row_mask:0xf bank_mask:0xf
	v_mov_b32_dpp v45, v45 quad_perm:[3,0,1,2] row_mask:0xf bank_mask:0xf
	;; [unrolled: 1-line block ×3, first 2 shown]
	s_waitcnt vmcnt(17)
	v_mov_b32_dpp v37, v37 quad_perm:[3,0,1,2] row_mask:0xf bank_mask:0xf
	v_mov_b32_dpp v52, v52 quad_perm:[3,0,1,2] row_mask:0xf bank_mask:0xf
	;; [unrolled: 1-line block ×4, first 2 shown]
	s_waitcnt vmcnt(15)
	ds_bpermute_b32 v7, v3, v49
	s_waitcnt vmcnt(14)
	ds_bpermute_b32 v8, v3, v53
	;; [unrolled: 2-line block ×7, first 2 shown]
	s_waitcnt lgkmcnt(3)
	v_perm_b32 v7, v49, v7, s0
	ds_bpermute_b32 v49, v3, v58
	v_perm_b32 v9, v9, v8, s0
	s_waitcnt vmcnt(7)
	ds_bpermute_b32 v55, v2, v60
	s_waitcnt vmcnt(6) lgkmcnt(3)
	v_perm_b32 v8, v53, v61, s0
	s_waitcnt vmcnt(5)
	v_perm_b32 v6, v6, v62, s0
	scratch_store_dwordx4 off, v[6:9], off offset:128
	v_and_b32_e32 v53, 0xffff, v68
	s_waitcnt vmcnt(3)
	ds_bpermute_b32 v8, v2, v65
	s_waitcnt lgkmcnt(2)
	v_perm_b32 v7, v54, v49, s0
	s_waitcnt vmcnt(1)
	ds_bpermute_b32 v49, v4, v67
	s_waitcnt lgkmcnt(2)
	v_perm_b32 v6, v55, v63, s0
	v_and_b32_e32 v54, 0xffff, v69
	v_and_b32_e32 v55, 0xffff, v70
	ds_bpermute_b32 v9, v3, v66
	ds_bpermute_b32 v53, v2, v53
	;; [unrolled: 1-line block ×4, first 2 shown]
	scratch_store_dwordx2 off, v[6:7], off offset:144
	s_waitcnt lgkmcnt(4)
	v_perm_b32 v7, v5, v49, s0
	v_and_b32_e32 v5, 0xffff, v10
	v_and_b32_e32 v10, 0xffff, v11
	;; [unrolled: 1-line block ×5, first 2 shown]
	ds_bpermute_b32 v5, v2, v5
	ds_bpermute_b32 v10, v3, v10
	;; [unrolled: 1-line block ×5, first 2 shown]
	s_waitcnt lgkmcnt(8)
	v_perm_b32 v6, v9, v8, s0
	s_waitcnt lgkmcnt(6)
	v_perm_b32 v8, v54, v53, s0
	;; [unrolled: 2-line block ×3, first 2 shown]
	v_and_b32_e32 v15, 0xffff, v16
	ds_bpermute_b32 v15, v4, v15
	scratch_store_dwordx4 off, v[6:9], off offset:154
	v_mov_b32_dpp v20, v20 quad_perm:[3,0,1,2] row_mask:0xf bank_mask:0xf
	scratch_store_short off, v64, off offset:152
	s_waitcnt lgkmcnt(2)
	v_perm_b32 v8, v14, v12, s0
	v_perm_b32 v6, v10, v5, s0
	s_waitcnt lgkmcnt(1)
	v_perm_b32 v7, v13, v11, s0
	v_and_b32_e32 v5, 0xffff, v18
	v_and_b32_e32 v10, 0xffff, v19
	;; [unrolled: 1-line block ×6, first 2 shown]
	ds_bpermute_b32 v5, v2, v5
	ds_bpermute_b32 v10, v3, v10
	;; [unrolled: 1-line block ×6, first 2 shown]
	s_waitcnt lgkmcnt(6)
	v_perm_b32 v9, v17, v15, s0
	scratch_store_dwordx4 off, v[6:9], off offset:170
	s_waitcnt lgkmcnt(2)
	s_nop 0
	v_perm_b32 v8, v13, v12, s0
	v_perm_b32 v6, v10, v5, s0
	s_waitcnt lgkmcnt(1)
	v_perm_b32 v9, v26, v14, s0
	s_waitcnt lgkmcnt(0)
	v_perm_b32 v7, v22, v11, s0
	v_and_b32_e32 v5, 0xffff, v27
	v_and_b32_e32 v10, 0xffff, v28
	;; [unrolled: 1-line block ×6, first 2 shown]
	ds_bpermute_b32 v5, v2, v5
	ds_bpermute_b32 v10, v3, v10
	;; [unrolled: 1-line block ×6, first 2 shown]
	scratch_store_dwordx4 off, v[6:9], off offset:186
	s_waitcnt lgkmcnt(2)
	s_nop 0
	v_perm_b32 v8, v13, v12, s0
	v_perm_b32 v6, v10, v5, s0
	s_waitcnt lgkmcnt(1)
	v_perm_b32 v9, v34, v14, s0
	s_waitcnt lgkmcnt(0)
	v_perm_b32 v7, v30, v11, s0
	v_and_b32_e32 v5, 0xffff, v35
	v_and_b32_e32 v10, 0xffff, v36
	;; [unrolled: 1-line block ×6, first 2 shown]
	ds_bpermute_b32 v5, v2, v5
	ds_bpermute_b32 v10, v3, v10
	;; [unrolled: 1-line block ×6, first 2 shown]
	scratch_store_dwordx4 off, v[6:9], off offset:202
	s_waitcnt lgkmcnt(4)
	s_nop 0
	v_perm_b32 v6, v10, v5, s0
	s_waitcnt lgkmcnt(1)
	v_perm_b32 v8, v13, v12, s0
	v_perm_b32 v7, v41, v11, s0
	s_waitcnt lgkmcnt(0)
	v_perm_b32 v9, v43, v14, s0
	scratch_store_dwordx4 off, v[6:9], off offset:218
	v_and_b32_e32 v5, 0xffff, v40
	ds_bpermute_b32 v5, v2, v5
	v_and_b32_e32 v6, 0xffff, v44
	v_and_b32_e32 v7, 0xffff, v46
	;; [unrolled: 1-line block ×3, first 2 shown]
	ds_bpermute_b32 v6, v3, v6
	ds_bpermute_b32 v7, v2, v7
	ds_bpermute_b32 v8, v3, v8
	v_and_b32_e32 v9, 0xffff, v45
	ds_bpermute_b32 v10, v4, v9
	v_and_b32_e32 v9, 0xffff, v47
	s_waitcnt lgkmcnt(3)
	v_perm_b32 v6, v6, v5, s0
	s_waitcnt lgkmcnt(1)
	v_perm_b32 v8, v8, v7, s0
	v_and_b32_e32 v5, 0xffff, v37
	v_and_b32_e32 v7, 0xffff, v52
	ds_bpermute_b32 v9, v4, v9
	ds_bpermute_b32 v5, v2, v5
	;; [unrolled: 1-line block ×3, first 2 shown]
	v_and_b32_e32 v7, 0xffff, v20
	ds_bpermute_b32 v12, v4, v7
	s_waitcnt lgkmcnt(3)
	v_perm_b32 v9, v51, v9, s0
	v_perm_b32 v7, v48, v10, s0
	s_waitcnt lgkmcnt(1)
	v_perm_b32 v5, v11, v5, s0
	scratch_store_dwordx4 off, v[6:9], off offset:234
	s_waitcnt lgkmcnt(0)
	scratch_store_short off, v12, off offset:254
	scratch_store_dword off, v5, off offset:250
	v_lshrrev_b32_e32 v5, 2, v1
	v_bfe_u32 v1, v1, 2, 2
	v_mov_b32_e32 v6, 0x80
	v_lshl_or_b32 v7, v1, 1, v6
	v_xor_b32_e32 v1, 2, v1
	v_add_u32_e32 v5, -1, v5
	v_lshl_or_b32 v31, v1, 1, v6
	v_add_u32_e32 v1, 3, v1
	v_and_b32_e32 v5, 3, v5
	v_and_b32_e32 v34, 3, v1
	v_lshlrev_b32_e32 v1, 1, v1
	v_lshl_or_b32 v5, v5, 1, v6
	v_lshl_or_b32 v34, v34, 1, v6
	v_or3_b32 v6, v1, v6, 8
	v_or_b32_e32 v35, 24, v1
	scratch_load_ushort v8, v7, off
	scratch_load_ushort v9, v7, off offset:8
	scratch_load_ushort v10, v7, off offset:16
	;; [unrolled: 1-line block ×7, first 2 shown]
	scratch_load_ushort v16, v5, off
	scratch_load_ushort v17, v5, off offset:8
	scratch_load_ushort v18, v5, off offset:16
	;; [unrolled: 1-line block ×14, first 2 shown]
	s_nop 0
	scratch_load_ushort v5, v5, off offset:120
	s_nop 0
	scratch_load_ushort v32, v31, off
	scratch_load_ushort v33, v31, off offset:8
	scratch_load_ushort v48, v31, off offset:16
	;; [unrolled: 1-line block ×14, first 2 shown]
	s_nop 0
	scratch_load_ushort v31, v31, off offset:120
	v_or_b32_e32 v36, 40, v1
	scratch_load_ushort v69, v34, off
	scratch_load_ushort v70, v34, off offset:16
	scratch_load_ushort v71, v34, off offset:32
	;; [unrolled: 1-line block ×3, first 2 shown]
	v_or_b32_e32 v37, 56, v1
	v_or_b32_e32 v38, 0x48, v1
	scratch_load_ushort v6, v6, off
	v_or_b32_e32 v39, 0x58, v1
	scratch_load_ushort v73, v35, off offset:128
	scratch_load_ushort v75, v36, off offset:128
	;; [unrolled: 1-line block ×6, first 2 shown]
	v_or_b32_e32 v35, 0x68, v1
	scratch_load_ushort v81, v34, off offset:80
	scratch_load_ushort v82, v34, off offset:96
	;; [unrolled: 1-line block ×3, first 2 shown]
                                        ; kill: killed $vgpr34
	scratch_load_ushort v84, v35, off offset:128
	v_or_b32_e32 v1, 0x78, v1
	scratch_load_ushort v1, v1, off offset:128
	s_nop 0
	scratch_load_ushort v86, v7, off offset:64
	scratch_load_ushort v87, v7, off offset:72
	;; [unrolled: 1-line block ×7, first 2 shown]
	s_nop 0
	scratch_load_ushort v7, v7, off offset:120
	s_waitcnt vmcnt(55)
	ds_bpermute_b32 v34, v4, v16
	s_waitcnt vmcnt(54)
	ds_bpermute_b32 v35, v4, v17
	;; [unrolled: 2-line block ×34, first 2 shown]
	ds_bpermute_b32 v68, v2, v70
	s_waitcnt vmcnt(18)
	ds_bpermute_b32 v69, v2, v73
	ds_bpermute_b32 v74, v2, v71
	s_waitcnt vmcnt(17)
	ds_bpermute_b32 v75, v2, v75
	;; [unrolled: 3-line block ×3, first 2 shown]
	s_waitcnt vmcnt(13)
	ds_bpermute_b32 v70, v2, v80
	ds_bpermute_b32 v71, v2, v78
	s_waitcnt vmcnt(12)
	ds_bpermute_b32 v72, v2, v81
	ds_bpermute_b32 v73, v2, v79
	s_waitcnt vmcnt(11)
	ds_bpermute_b32 v78, v2, v82
	s_waitcnt vmcnt(9)
	ds_bpermute_b32 v79, v2, v84
	ds_bpermute_b32 v80, v2, v83
	s_waitcnt vmcnt(8)
	ds_bpermute_b32 v81, v2, v1
	v_perm_b32 v82, v9, v8, s0
	v_perm_b32 v83, v11, v10, s0
	;; [unrolled: 1-line block ×4, first 2 shown]
	s_waitcnt vmcnt(6)
	v_perm_b32 v86, v87, v86, s0
	s_waitcnt vmcnt(4)
	v_perm_b32 v87, v89, v88, s0
	;; [unrolled: 2-line block ×4, first 2 shown]
.LBB28_4:
	s_mov_b32 s0, 0x5040100
	v_lshlrev_b32_e32 v4, 1, v0
	s_waitcnt lgkmcnt(14)
	v_perm_b32 v3, v45, v44, s0
	v_perm_b32 v2, v43, v42, s0
	;; [unrolled: 1-line block ×4, first 2 shown]
	global_store_dwordx4 v4, v[82:85], s[6:7]
	global_store_dwordx4 v4, v[86:89], s[6:7] offset:16
	global_store_dwordx4 v4, v[0:3], s[6:7] offset:32
	s_nop 1
	v_perm_b32 v3, v53, v52, s0
	v_perm_b32 v2, v51, v50, s0
	v_perm_b32 v1, v41, v40, s0
	v_perm_b32 v0, v39, v38, s0
	global_store_dwordx4 v4, v[0:3], s[6:7] offset:48
	s_nop 1
	v_perm_b32 v3, v61, v60, s0
	v_perm_b32 v2, v59, v58, s0
	v_perm_b32 v1, v49, v48, s0
	v_perm_b32 v0, v47, v46, s0
	;; [unrolled: 6-line block ×3, first 2 shown]
	global_store_dwordx4 v4, v[0:3], s[6:7] offset:80
	s_waitcnt lgkmcnt(4)
	s_nop 0
	v_perm_b32 v3, v77, v76, s0
	v_perm_b32 v2, v75, v74, s0
	;; [unrolled: 1-line block ×4, first 2 shown]
	global_store_dwordx4 v4, v[0:3], s[6:7] offset:96
	s_waitcnt lgkmcnt(0)
	s_nop 0
	v_perm_b32 v3, v81, v80, s0
	v_perm_b32 v2, v79, v78, s0
	;; [unrolled: 1-line block ×4, first 2 shown]
	global_store_dwordx4 v4, v[0:3], s[6:7] offset:112
	s_endpgm
	.section	.rodata,"a",@progbits
	.p2align	6, 0x0
	.amdhsa_kernel _Z20warp_exchange_kernelILj64ELj16EN6common25BlockedToStripedShuffleOpE12hip_bfloat16EvPT2_S4_b
		.amdhsa_group_segment_fixed_size 0
		.amdhsa_private_segment_fixed_size 272
		.amdhsa_kernarg_size 20
		.amdhsa_user_sgpr_count 2
		.amdhsa_user_sgpr_dispatch_ptr 0
		.amdhsa_user_sgpr_queue_ptr 0
		.amdhsa_user_sgpr_kernarg_segment_ptr 1
		.amdhsa_user_sgpr_dispatch_id 0
		.amdhsa_user_sgpr_kernarg_preload_length 0
		.amdhsa_user_sgpr_kernarg_preload_offset 0
		.amdhsa_user_sgpr_private_segment_size 0
		.amdhsa_uses_dynamic_stack 0
		.amdhsa_enable_private_segment 1
		.amdhsa_system_sgpr_workgroup_id_x 1
		.amdhsa_system_sgpr_workgroup_id_y 0
		.amdhsa_system_sgpr_workgroup_id_z 0
		.amdhsa_system_sgpr_workgroup_info 0
		.amdhsa_system_vgpr_workitem_id 0
		.amdhsa_next_free_vgpr 127
		.amdhsa_next_free_sgpr 8
		.amdhsa_accum_offset 128
		.amdhsa_reserve_vcc 0
		.amdhsa_float_round_mode_32 0
		.amdhsa_float_round_mode_16_64 0
		.amdhsa_float_denorm_mode_32 3
		.amdhsa_float_denorm_mode_16_64 3
		.amdhsa_dx10_clamp 1
		.amdhsa_ieee_mode 1
		.amdhsa_fp16_overflow 0
		.amdhsa_tg_split 0
		.amdhsa_exception_fp_ieee_invalid_op 0
		.amdhsa_exception_fp_denorm_src 0
		.amdhsa_exception_fp_ieee_div_zero 0
		.amdhsa_exception_fp_ieee_overflow 0
		.amdhsa_exception_fp_ieee_underflow 0
		.amdhsa_exception_fp_ieee_inexact 0
		.amdhsa_exception_int_div_zero 0
	.end_amdhsa_kernel
	.section	.text._Z20warp_exchange_kernelILj64ELj16EN6common25BlockedToStripedShuffleOpE12hip_bfloat16EvPT2_S4_b,"axG",@progbits,_Z20warp_exchange_kernelILj64ELj16EN6common25BlockedToStripedShuffleOpE12hip_bfloat16EvPT2_S4_b,comdat
.Lfunc_end28:
	.size	_Z20warp_exchange_kernelILj64ELj16EN6common25BlockedToStripedShuffleOpE12hip_bfloat16EvPT2_S4_b, .Lfunc_end28-_Z20warp_exchange_kernelILj64ELj16EN6common25BlockedToStripedShuffleOpE12hip_bfloat16EvPT2_S4_b
                                        ; -- End function
	.section	.AMDGPU.csdata,"",@progbits
; Kernel info:
; codeLenInByte = 9424
; NumSgprs: 14
; NumVgprs: 127
; NumAgprs: 0
; TotalNumVgprs: 127
; ScratchSize: 272
; MemoryBound: 0
; FloatMode: 240
; IeeeMode: 1
; LDSByteSize: 0 bytes/workgroup (compile time only)
; SGPRBlocks: 1
; VGPRBlocks: 15
; NumSGPRsForWavesPerEU: 14
; NumVGPRsForWavesPerEU: 127
; AccumOffset: 128
; Occupancy: 4
; WaveLimiterHint : 0
; COMPUTE_PGM_RSRC2:SCRATCH_EN: 1
; COMPUTE_PGM_RSRC2:USER_SGPR: 2
; COMPUTE_PGM_RSRC2:TRAP_HANDLER: 0
; COMPUTE_PGM_RSRC2:TGID_X_EN: 1
; COMPUTE_PGM_RSRC2:TGID_Y_EN: 0
; COMPUTE_PGM_RSRC2:TGID_Z_EN: 0
; COMPUTE_PGM_RSRC2:TIDIG_COMP_CNT: 0
; COMPUTE_PGM_RSRC3_GFX90A:ACCUM_OFFSET: 31
; COMPUTE_PGM_RSRC3_GFX90A:TG_SPLIT: 0
	.section	.text._Z20warp_exchange_kernelILj64ELj8EN6common25BlockedToStripedShuffleOpElEvPT2_S3_b,"axG",@progbits,_Z20warp_exchange_kernelILj64ELj8EN6common25BlockedToStripedShuffleOpElEvPT2_S3_b,comdat
	.protected	_Z20warp_exchange_kernelILj64ELj8EN6common25BlockedToStripedShuffleOpElEvPT2_S3_b ; -- Begin function _Z20warp_exchange_kernelILj64ELj8EN6common25BlockedToStripedShuffleOpElEvPT2_S3_b
	.globl	_Z20warp_exchange_kernelILj64ELj8EN6common25BlockedToStripedShuffleOpElEvPT2_S3_b
	.p2align	8
	.type	_Z20warp_exchange_kernelILj64ELj8EN6common25BlockedToStripedShuffleOpElEvPT2_S3_b,@function
_Z20warp_exchange_kernelILj64ELj8EN6common25BlockedToStripedShuffleOpElEvPT2_S3_b: ; @_Z20warp_exchange_kernelILj64ELj8EN6common25BlockedToStripedShuffleOpElEvPT2_S3_b
; %bb.0:
	s_load_dword s2, s[0:1], 0x10
	s_load_dwordx4 s[4:7], s[0:1], 0x0
	v_lshlrev_b32_e32 v80, 6, v0
	v_lshlrev_b32_e32 v0, 9, v0
	v_mbcnt_lo_u32_b32 v1, -1, 0
	s_waitcnt lgkmcnt(0)
	s_bitcmp0_b32 s2, 0
	global_load_dwordx4 v[4:7], v0, s[4:5] offset:48
	global_load_dwordx4 v[122:125], v0, s[4:5] offset:32
	;; [unrolled: 1-line block ×3, first 2 shown]
	global_load_dwordx4 v[56:59], v0, s[4:5]
	global_load_dwordx4 v[12:15], v0, s[4:5] offset:112
	global_load_dwordx4 v[114:117], v0, s[4:5] offset:96
	;; [unrolled: 1-line block ×25, first 2 shown]
	v_mbcnt_hi_u32_b32 v81, -1, v1
	s_waitcnt vmcnt(0)
	scratch_store_dwordx4 off, v[72:75], off offset:1040 ; 16-byte Folded Spill
	global_load_dwordx4 v[72:75], v0, s[4:5] offset:480
	s_waitcnt vmcnt(0)
	scratch_store_dwordx4 off, v[72:75], off offset:1056 ; 16-byte Folded Spill
	global_load_dwordx4 v[72:75], v0, s[4:5] offset:464
	s_nop 0
	global_load_dwordx4 v[76:79], v0, s[4:5] offset:448
	s_nop 0
	scratch_store_dwordx4 off, v[40:43], off offset:1072 ; 16-byte Folded Spill
	scratch_store_dwordx4 off, v[44:47], off offset:1088 ; 16-byte Folded Spill
	;; [unrolled: 1-line block ×6, first 2 shown]
	s_waitcnt vmcnt(7)
	scratch_store_dwordx4 off, v[72:75], off offset:1168 ; 16-byte Folded Spill
	scratch_store_dwordx4 off, v[28:31], off offset:1184 ; 16-byte Folded Spill
	s_waitcnt vmcnt(8)
	scratch_store_dwordx4 off, v[76:79], off offset:1200 ; 16-byte Folded Spill
	scratch_store_dwordx4 off, v[32:35], off offset:1216 ; 16-byte Folded Spill
	;; [unrolled: 1-line block ×22, first 2 shown]
	s_cbranch_scc0 .LBB29_2
; %bb.1:
	scratch_store_dwordx4 off, v[56:59], off
	scratch_store_dwordx4 off, v[52:55], off offset:16
	scratch_load_dwordx4 v[0:3], off, off offset:8
	s_nop 0
	scratch_store_dwordx4 off, v[122:125], off offset:32
	scratch_store_dwordx4 off, v[4:7], off offset:48
	scratch_load_dwordx4 v[4:7], off, off offset:40
	s_nop 0
	scratch_store_dwordx4 off, v[118:121], off offset:64
	;; [unrolled: 4-line block ×9, first 2 shown]
	scratch_store_dwordx4 off, v[60:63], off offset:304
	scratch_load_dwordx4 v[36:39], off, off offset:296
	s_waitcnt vmcnt(27)
	v_mov_b32_dpp v0, v0 quad_perm:[3,0,1,2] row_mask:0xf bank_mask:0xf
	v_mov_b32_dpp v1, v1 quad_perm:[3,0,1,2] row_mask:0xf bank_mask:0xf
	v_mov_b32_dpp v2, v2 quad_perm:[2,3,0,1] row_mask:0xf bank_mask:0xf
	v_mov_b32_dpp v3, v3 quad_perm:[2,3,0,1] row_mask:0xf bank_mask:0xf
	s_waitcnt vmcnt(24)
	v_mov_b32_dpp v4, v4 quad_perm:[3,0,1,2] row_mask:0xf bank_mask:0xf
	v_mov_b32_dpp v5, v5 quad_perm:[3,0,1,2] row_mask:0xf bank_mask:0xf
	v_mov_b32_dpp v6, v6 quad_perm:[2,3,0,1] row_mask:0xf bank_mask:0xf
	v_mov_b32_dpp v7, v7 quad_perm:[2,3,0,1] row_mask:0xf bank_mask:0xf
	;; [unrolled: 5-line block ×10, first 2 shown]
	scratch_store_dwordx4 off, v[0:3], off offset:8
	scratch_store_dwordx4 off, v[4:7], off offset:40
	;; [unrolled: 1-line block ×12, first 2 shown]
	scratch_load_dwordx2 v[4:5], off, off offset:360
	scratch_load_dwordx2 v[0:1], off, off offset:328
	s_nop 0
	scratch_store_dwordx2 off, v[48:49], off offset:336
	scratch_load_dword v2, off, off offset:340
	s_waitcnt vmcnt(2)
	v_mov_b32_dpp v0, v0 quad_perm:[3,0,1,2] row_mask:0xf bank_mask:0xf
	v_mov_b32_dpp v1, v1 quad_perm:[3,0,1,2] row_mask:0xf bank_mask:0xf
	scratch_store_dwordx2 off, v[40:41], off offset:368
	s_waitcnt vmcnt(1)
	v_mov_b32_dpp v3, v2 quad_perm:[2,3,0,1] row_mask:0xf bank_mask:0xf
	v_mov_b32_dpp v2, v48 quad_perm:[2,3,0,1] row_mask:0xf bank_mask:0xf
	scratch_store_dwordx4 off, v[0:3], off offset:328
	scratch_load_dword v2, off, off offset:372
	s_nop 0
	v_mov_b32_dpp v0, v4 quad_perm:[3,0,1,2] row_mask:0xf bank_mask:0xf
	v_mov_b32_dpp v1, v5 quad_perm:[3,0,1,2] row_mask:0xf bank_mask:0xf
	;; [unrolled: 1-line block ×3, first 2 shown]
	s_waitcnt vmcnt(0)
	v_mov_b32_dpp v3, v2 quad_perm:[2,3,0,1] row_mask:0xf bank_mask:0xf
	v_mov_b32_dpp v2, v40 quad_perm:[2,3,0,1] row_mask:0xf bank_mask:0xf
	scratch_store_dwordx4 off, v[0:3], off offset:360
	scratch_store_dwordx4 off, v[82:85], off offset:384
	;; [unrolled: 1-line block ×3, first 2 shown]
	scratch_load_dwordx2 v[2:3], off, off offset:392
	s_nop 0
	scratch_load_dwordx2 v[0:1], off, off offset:404
	s_waitcnt vmcnt(1)
	v_mov_b32_dpp v2, v2 quad_perm:[3,0,1,2] row_mask:0xf bank_mask:0xf
	v_mov_b32_dpp v3, v3 quad_perm:[3,0,1,2] row_mask:0xf bank_mask:0xf
	s_waitcnt vmcnt(0)
	v_mov_b32_dpp v5, v0 quad_perm:[2,3,0,1] row_mask:0xf bank_mask:0xf
	scratch_store_dwordx4 off, v[2:5], off offset:392
	scratch_store_dwordx4 off, v[68:71], off offset:416
	scratch_store_dwordx4 off, v[64:67], off offset:432
	scratch_load_dwordx4 v[2:5], off, off offset:424
	v_and_b32_e32 v0, 3, v81
	v_lshlrev_b32_e32 v10, 3, v0
	v_xor_b32_e32 v0, 2, v0
	s_waitcnt vmcnt(0)
	v_mov_b32_dpp v2, v2 quad_perm:[3,0,1,2] row_mask:0xf bank_mask:0xf
	v_mov_b32_dpp v3, v3 quad_perm:[3,0,1,2] row_mask:0xf bank_mask:0xf
	;; [unrolled: 1-line block ×4, first 2 shown]
	scratch_store_dwordx4 off, v[2:5], off offset:424
	scratch_store_dwordx4 off, v[76:79], off offset:448
	scratch_store_dwordx4 off, v[72:75], off offset:464
	scratch_load_dwordx4 v[2:5], off, off offset:456
	s_waitcnt vmcnt(0)
	s_nop 0
	v_mov_b32_dpp v2, v2 quad_perm:[3,0,1,2] row_mask:0xf bank_mask:0xf
	v_mov_b32_dpp v3, v3 quad_perm:[3,0,1,2] row_mask:0xf bank_mask:0xf
	;; [unrolled: 1-line block ×4, first 2 shown]
	scratch_store_dwordx4 off, v[2:5], off offset:456
	scratch_load_dwordx4 v[2:5], off, off offset:1056 ; 16-byte Folded Reload
	s_waitcnt vmcnt(0)
	scratch_store_dwordx4 off, v[2:5], off offset:480
	scratch_load_dwordx4 v[2:5], off, off offset:1040 ; 16-byte Folded Reload
	s_waitcnt vmcnt(0)
	scratch_store_dwordx4 off, v[2:5], off offset:496
	scratch_load_dwordx4 v[2:5], off, off offset:488
	s_waitcnt vmcnt(0)
	s_nop 0
	v_mov_b32_dpp v2, v2 quad_perm:[3,0,1,2] row_mask:0xf bank_mask:0xf
	v_mov_b32_dpp v3, v3 quad_perm:[3,0,1,2] row_mask:0xf bank_mask:0xf
	;; [unrolled: 1-line block ×4, first 2 shown]
	scratch_store_dwordx4 off, v[2:5], off offset:488
	scratch_load_dwordx2 v[2:3], off, off offset:24
	s_waitcnt vmcnt(0)
	s_nop 0
	v_mov_b32_dpp v2, v2 quad_perm:[1,2,3,0] row_mask:0xf bank_mask:0xf
	v_mov_b32_dpp v3, v3 quad_perm:[1,2,3,0] row_mask:0xf bank_mask:0xf
	scratch_store_dwordx2 off, v[2:3], off offset:24
	scratch_load_dwordx2 v[2:3], off, off offset:56
	s_waitcnt vmcnt(0)
	s_nop 0
	v_mov_b32_dpp v2, v2 quad_perm:[1,2,3,0] row_mask:0xf bank_mask:0xf
	v_mov_b32_dpp v3, v3 quad_perm:[1,2,3,0] row_mask:0xf bank_mask:0xf
	scratch_store_dwordx2 off, v[2:3], off offset:56
	;; [unrolled: 6-line block ×4, first 2 shown]
	scratch_load_dwordx2 v[2:3], v10, off
	s_nop 0
	scratch_load_dwordx2 v[4:5], v10, off offset:32
	scratch_load_dwordx2 v[6:7], v10, off offset:64
	;; [unrolled: 1-line block ×3, first 2 shown]
	s_waitcnt vmcnt(2)
	scratch_store_dwordx4 off, v[2:5], off offset:512
	s_waitcnt vmcnt(1)
	scratch_store_dwordx4 off, v[6:9], off offset:528
	scratch_load_dwordx2 v[2:3], off, off offset:152
	scratch_load_dwordx2 v[4:5], off, off offset:184
	s_waitcnt vmcnt(1)
	v_mov_b32_dpp v2, v2 quad_perm:[1,2,3,0] row_mask:0xf bank_mask:0xf
	v_mov_b32_dpp v3, v3 quad_perm:[1,2,3,0] row_mask:0xf bank_mask:0xf
	s_waitcnt vmcnt(0)
	v_mov_b32_dpp v4, v4 quad_perm:[1,2,3,0] row_mask:0xf bank_mask:0xf
	v_mov_b32_dpp v5, v5 quad_perm:[1,2,3,0] row_mask:0xf bank_mask:0xf
	scratch_store_dwordx2 off, v[2:3], off offset:152
	scratch_store_dwordx2 off, v[4:5], off offset:184
	scratch_load_dwordx2 v[2:3], off, off offset:216
	s_waitcnt vmcnt(0)
	s_nop 0
	v_mov_b32_dpp v2, v2 quad_perm:[1,2,3,0] row_mask:0xf bank_mask:0xf
	v_mov_b32_dpp v3, v3 quad_perm:[1,2,3,0] row_mask:0xf bank_mask:0xf
	scratch_store_dwordx2 off, v[2:3], off offset:216
	scratch_load_dwordx2 v[2:3], off, off offset:248
	s_waitcnt vmcnt(0)
	s_nop 0
	v_mov_b32_dpp v2, v2 quad_perm:[1,2,3,0] row_mask:0xf bank_mask:0xf
	v_mov_b32_dpp v3, v3 quad_perm:[1,2,3,0] row_mask:0xf bank_mask:0xf
	scratch_store_dwordx2 off, v[2:3], off offset:248
	scratch_load_dwordx2 v[2:3], v10, off offset:128
	s_nop 0
	scratch_load_dwordx2 v[4:5], v10, off offset:160
	scratch_load_dwordx2 v[6:7], v10, off offset:192
	;; [unrolled: 1-line block ×3, first 2 shown]
	s_waitcnt vmcnt(2)
	scratch_store_dwordx4 off, v[2:5], off offset:544
	s_waitcnt vmcnt(1)
	scratch_store_dwordx4 off, v[6:9], off offset:560
	scratch_load_dwordx2 v[2:3], off, off offset:280
	s_waitcnt vmcnt(0)
	s_nop 0
	v_mov_b32_dpp v2, v2 quad_perm:[1,2,3,0] row_mask:0xf bank_mask:0xf
	v_mov_b32_dpp v3, v3 quad_perm:[1,2,3,0] row_mask:0xf bank_mask:0xf
	scratch_store_dwordx2 off, v[2:3], off offset:280
	scratch_load_dword v2, off, off offset:316
	s_waitcnt vmcnt(0)
	s_nop 0
	v_mov_b32_dpp v3, v2 quad_perm:[1,2,3,0] row_mask:0xf bank_mask:0xf
	v_mov_b32_dpp v2, v62 quad_perm:[1,2,3,0] row_mask:0xf bank_mask:0xf
	scratch_store_dwordx2 off, v[2:3], off offset:312
	v_mov_b32_dpp v3, v51 quad_perm:[1,2,3,0] row_mask:0xf bank_mask:0xf
	v_mov_b32_dpp v2, v50 quad_perm:[1,2,3,0] row_mask:0xf bank_mask:0xf
	scratch_store_dwordx2 off, v[2:3], off offset:344
	;; [unrolled: 3-line block ×3, first 2 shown]
	scratch_load_dwordx2 v[2:3], v10, off offset:256
	s_nop 0
	scratch_load_dwordx2 v[4:5], v10, off offset:288
	scratch_load_dwordx2 v[6:7], v10, off offset:320
	;; [unrolled: 1-line block ×3, first 2 shown]
	s_waitcnt vmcnt(2)
	scratch_store_dwordx4 off, v[2:5], off offset:576
	s_waitcnt vmcnt(1)
	scratch_store_dwordx4 off, v[6:9], off offset:592
	v_mov_b32_dpp v2, v1 quad_perm:[1,2,3,0] row_mask:0xf bank_mask:0xf
	v_mov_b32_dpp v3, v47 quad_perm:[1,2,3,0] row_mask:0xf bank_mask:0xf
	scratch_store_dwordx2 off, v[2:3], off offset:408
	scratch_load_dwordx2 v[2:3], off, off offset:440
	v_add_u32_e32 v1, -1, v81
	v_and_b32_e32 v1, 3, v1
	v_lshlrev_b32_e32 v1, 3, v1
	s_waitcnt vmcnt(0)
	v_mov_b32_dpp v2, v2 quad_perm:[1,2,3,0] row_mask:0xf bank_mask:0xf
	v_mov_b32_dpp v3, v3 quad_perm:[1,2,3,0] row_mask:0xf bank_mask:0xf
	scratch_store_dwordx2 off, v[2:3], off offset:440
	scratch_load_dwordx2 v[2:3], off, off offset:472
	s_waitcnt vmcnt(0)
	s_nop 0
	v_mov_b32_dpp v2, v2 quad_perm:[1,2,3,0] row_mask:0xf bank_mask:0xf
	v_mov_b32_dpp v3, v3 quad_perm:[1,2,3,0] row_mask:0xf bank_mask:0xf
	scratch_store_dwordx2 off, v[2:3], off offset:472
	scratch_load_dwordx2 v[2:3], off, off offset:504
	s_waitcnt vmcnt(0)
	s_nop 0
	v_mov_b32_dpp v2, v2 quad_perm:[1,2,3,0] row_mask:0xf bank_mask:0xf
	v_mov_b32_dpp v3, v3 quad_perm:[1,2,3,0] row_mask:0xf bank_mask:0xf
	scratch_store_dwordx2 off, v[2:3], off offset:504
	scratch_load_dwordx2 v[2:3], v10, off offset:384
	s_nop 0
	scratch_load_dwordx2 v[4:5], v10, off offset:416
	scratch_load_dwordx2 v[6:7], v10, off offset:448
	;; [unrolled: 1-line block ×3, first 2 shown]
	s_waitcnt vmcnt(2)
	scratch_store_dwordx4 off, v[2:5], off offset:608
	s_waitcnt vmcnt(1)
	scratch_store_dwordx4 off, v[6:9], off offset:624
	scratch_load_dwordx2 v[2:3], v1, off
	scratch_load_dwordx2 v[4:5], v1, off offset:32
	s_nop 0
	scratch_load_dwordx2 v[6:7], v1, off offset:64
	scratch_load_dwordx2 v[8:9], v1, off offset:96
	s_waitcnt vmcnt(2)
	scratch_store_dwordx4 off, v[2:5], off offset:640
	s_waitcnt vmcnt(1)
	scratch_store_dwordx4 off, v[6:9], off offset:656
	scratch_load_dwordx2 v[2:3], v1, off offset:128
	scratch_load_dwordx2 v[4:5], v1, off offset:160
	s_nop 0
	scratch_load_dwordx2 v[6:7], v1, off offset:192
	scratch_load_dwordx2 v[8:9], v1, off offset:224
	s_waitcnt vmcnt(2)
	scratch_store_dwordx4 off, v[2:5], off offset:672
	s_waitcnt vmcnt(1)
	scratch_store_dwordx4 off, v[6:9], off offset:688
	scratch_load_dwordx2 v[2:3], v1, off offset:256
	;; [unrolled: 9-line block ×3, first 2 shown]
	scratch_load_dwordx2 v[4:5], v1, off offset:416
	s_nop 0
	scratch_load_dwordx2 v[6:7], v1, off offset:448
	scratch_load_dwordx2 v[8:9], v1, off offset:480
	s_waitcnt vmcnt(2)
	scratch_store_dwordx4 off, v[2:5], off offset:736
	s_waitcnt vmcnt(1)
	scratch_store_dwordx4 off, v[6:9], off offset:752
	s_nop 1
	v_lshlrev_b32_e32 v6, 3, v0
	scratch_load_dwordx2 v[2:3], v6, off
	scratch_load_dwordx2 v[4:5], v6, off offset:32
	scratch_load_dwordx2 v[8:9], v6, off offset:64
	;; [unrolled: 1-line block ×3, first 2 shown]
	s_waitcnt vmcnt(2)
	scratch_store_dwordx4 off, v[2:5], off offset:768
	s_waitcnt vmcnt(1)
	scratch_store_dwordx4 off, v[8:11], off offset:784
	scratch_load_dwordx2 v[2:3], v6, off offset:128
	scratch_load_dwordx2 v[4:5], v6, off offset:160
	s_nop 0
	scratch_load_dwordx2 v[8:9], v6, off offset:192
	scratch_load_dwordx2 v[10:11], v6, off offset:224
	s_waitcnt vmcnt(2)
	scratch_store_dwordx4 off, v[2:5], off offset:800
	s_waitcnt vmcnt(1)
	scratch_store_dwordx4 off, v[8:11], off offset:816
	scratch_load_dwordx2 v[2:3], v6, off offset:256
	scratch_load_dwordx2 v[4:5], v6, off offset:288
	s_nop 0
	scratch_load_dwordx2 v[8:9], v6, off offset:320
	scratch_load_dwordx2 v[10:11], v6, off offset:352
	s_waitcnt vmcnt(2)
	scratch_store_dwordx4 off, v[2:5], off offset:832
	s_waitcnt vmcnt(1)
	scratch_store_dwordx4 off, v[8:11], off offset:848
	scratch_load_dwordx4 v[16:19], off, off offset:632
	scratch_load_dwordx4 v[2:5], off, off offset:648
	s_waitcnt vmcnt(1)
	v_mov_b32_dpp v8, v18 quad_perm:[1,2,3,0] row_mask:0xf bank_mask:0xf
	s_waitcnt vmcnt(0)
	v_mov_b32_dpp v10, v2 quad_perm:[1,2,3,0] row_mask:0xf bank_mask:0xf
	v_add_u32_e32 v2, 3, v0
	v_mov_b32_dpp v9, v19 quad_perm:[1,2,3,0] row_mask:0xf bank_mask:0xf
	v_mov_b32_dpp v11, v3 quad_perm:[1,2,3,0] row_mask:0xf bank_mask:0xf
	v_and_b32_e32 v0, 3, v2
	v_lshlrev_b32_e32 v24, 3, v2
	scratch_store_dwordx4 off, v[8:11], off offset:640
	v_lshlrev_b32_e32 v7, 3, v0
	v_or_b32_e32 v2, 0x60, v24
	v_mov_b32_dpp v18, v4 quad_perm:[1,2,3,0] row_mask:0xf bank_mask:0xf
	v_mov_b32_dpp v19, v5 quad_perm:[1,2,3,0] row_mask:0xf bank_mask:0xf
	scratch_load_dwordx2 v[0:1], v7, off offset:64
	scratch_load_dwordx2 v[4:5], v7, off offset:128
	;; [unrolled: 1-line block ×3, first 2 shown]
	scratch_load_dwordx2 v[14:15], v7, off
	v_or_b32_e32 v8, 0xa0, v24
	scratch_load_dwordx2 v[2:3], v2, off
	v_or_b32_e32 v10, 0xe0, v24
	scratch_load_dwordx2 v[8:9], v8, off
	s_waitcnt vmcnt(5)
	v_mov_b32_dpp v0, v0 quad_perm:[3,0,1,2] row_mask:0xf bank_mask:0xf
	scratch_load_dwordx2 v[20:21], v10, off
	v_mov_b32_dpp v1, v1 quad_perm:[3,0,1,2] row_mask:0xf bank_mask:0xf
	v_or_b32_e32 v10, 32, v24
	scratch_load_dwordx2 v[22:23], v10, off
	s_waitcnt vmcnt(3)
	v_mov_b32_dpp v2, v2 quad_perm:[3,0,1,2] row_mask:0xf bank_mask:0xf
	v_mov_b32_dpp v3, v3 quad_perm:[3,0,1,2] row_mask:0xf bank_mask:0xf
	scratch_store_dwordx4 off, v[0:3], off offset:912
	s_nop 1
	v_mov_b32_dpp v0, v4 quad_perm:[3,0,1,2] row_mask:0xf bank_mask:0xf
	v_mov_b32_dpp v1, v5 quad_perm:[3,0,1,2] row_mask:0xf bank_mask:0xf
	s_waitcnt vmcnt(3)
	v_mov_b32_dpp v2, v8 quad_perm:[3,0,1,2] row_mask:0xf bank_mask:0xf
	v_mov_b32_dpp v3, v9 quad_perm:[3,0,1,2] row_mask:0xf bank_mask:0xf
	scratch_store_dwordx4 off, v[0:3], off offset:928
	scratch_load_dwordx2 v[0:1], v6, off offset:448
	s_nop 0
	scratch_load_dwordx2 v[2:3], v6, off offset:480
	s_waitcnt vmcnt(1)
	v_mov_b32_dpp v8, v0 quad_perm:[2,3,0,1] row_mask:0xf bank_mask:0xf
	s_waitcnt vmcnt(0)
	scratch_store_dwordx2 off, v[2:3], off offset:888
	v_mov_b32_dpp v9, v1 quad_perm:[2,3,0,1] row_mask:0xf bank_mask:0xf
	v_mov_b32_dpp v10, v2 quad_perm:[2,3,0,1] row_mask:0xf bank_mask:0xf
	scratch_load_dword v4, off, off offset:892
	scratch_load_dwordx2 v[2:3], off, off offset:920
	scratch_load_dwordx2 v[0:1], off, off offset:936
	s_waitcnt vmcnt(2)
	v_mov_b32_dpp v11, v4 quad_perm:[2,3,0,1] row_mask:0xf bank_mask:0xf
	scratch_store_dwordx4 off, v[8:11], off offset:880
	s_nop 1
	v_mov_b32_dpp v8, v14 quad_perm:[3,0,1,2] row_mask:0xf bank_mask:0xf
	v_mov_b32_dpp v9, v15 quad_perm:[3,0,1,2] row_mask:0xf bank_mask:0xf
	;; [unrolled: 1-line block ×4, first 2 shown]
	scratch_store_dwordx4 off, v[8:11], off offset:896
	s_nop 1
	v_mov_b32_dpp v8, v12 quad_perm:[3,0,1,2] row_mask:0xf bank_mask:0xf
	v_mov_b32_dpp v9, v13 quad_perm:[3,0,1,2] row_mask:0xf bank_mask:0xf
	;; [unrolled: 1-line block ×4, first 2 shown]
	scratch_store_dwordx4 off, v[8:11], off offset:944
	scratch_load_dwordx4 v[8:11], off, off offset:664
	v_or_b32_e32 v12, 0x1a0, v24
	v_or_b32_e32 v13, 0x1e0, v24
	s_waitcnt vmcnt(0)
	v_mov_b32_dpp v20, v8 quad_perm:[1,2,3,0] row_mask:0xf bank_mask:0xf
	v_mov_b32_dpp v21, v9 quad_perm:[1,2,3,0] row_mask:0xf bank_mask:0xf
	scratch_store_dwordx4 off, v[18:21], off offset:656
	scratch_load_dwordx2 v[4:5], v7, off offset:256
	scratch_load_dwordx2 v[14:15], v7, off offset:320
	s_nop 0
	scratch_load_dwordx2 v[18:19], v7, off offset:384
	scratch_load_dwordx2 v[20:21], v7, off offset:448
	v_mov_b32_dpp v8, v10 quad_perm:[1,2,3,0] row_mask:0xf bank_mask:0xf
	v_mov_b32_dpp v9, v11 quad_perm:[1,2,3,0] row_mask:0xf bank_mask:0xf
	v_or_b32_e32 v7, 0x160, v24
	s_waitcnt vmcnt(3)
	v_mov_b32_dpp v10, v4 quad_perm:[3,0,1,2] row_mask:0xf bank_mask:0xf
	v_or_b32_e32 v4, 0x120, v24
	v_mov_b32_dpp v11, v5 quad_perm:[3,0,1,2] row_mask:0xf bank_mask:0xf
	scratch_load_dwordx2 v[4:5], v4, off
	s_nop 0
	scratch_load_dwordx2 v[22:23], v7, off
	scratch_load_dwordx2 v[24:25], v12, off
	;; [unrolled: 1-line block ×3, first 2 shown]
	s_waitcnt vmcnt(3)
	v_mov_b32_dpp v12, v4 quad_perm:[3,0,1,2] row_mask:0xf bank_mask:0xf
	v_mov_b32_dpp v13, v5 quad_perm:[3,0,1,2] row_mask:0xf bank_mask:0xf
	scratch_store_dwordx4 off, v[10:13], off offset:960
	v_lshlrev_b32_e32 v4, 2, v81
	v_xor_b32_e32 v29, 16, v4
	v_mov_b32_dpp v10, v14 quad_perm:[3,0,1,2] row_mask:0xf bank_mask:0xf
	v_mov_b32_dpp v11, v15 quad_perm:[3,0,1,2] row_mask:0xf bank_mask:0xf
	s_waitcnt vmcnt(3)
	v_mov_b32_dpp v12, v22 quad_perm:[3,0,1,2] row_mask:0xf bank_mask:0xf
	v_mov_b32_dpp v13, v23 quad_perm:[3,0,1,2] row_mask:0xf bank_mask:0xf
	scratch_store_dwordx4 off, v[10:13], off offset:976
	ds_bpermute_b32 v4, v29, v16
	ds_bpermute_b32 v5, v29, v17
	v_mov_b32_dpp v10, v18 quad_perm:[3,0,1,2] row_mask:0xf bank_mask:0xf
	v_mov_b32_dpp v11, v19 quad_perm:[3,0,1,2] row_mask:0xf bank_mask:0xf
	s_waitcnt vmcnt(3)
	v_mov_b32_dpp v12, v24 quad_perm:[3,0,1,2] row_mask:0xf bank_mask:0xf
	v_mov_b32_dpp v13, v25 quad_perm:[3,0,1,2] row_mask:0xf bank_mask:0xf
	scratch_store_dwordx4 off, v[10:13], off offset:992
	ds_bpermute_b32 v2, v29, v2
	ds_bpermute_b32 v3, v29, v3
	v_mov_b32_dpp v10, v20 quad_perm:[3,0,1,2] row_mask:0xf bank_mask:0xf
	v_mov_b32_dpp v11, v21 quad_perm:[3,0,1,2] row_mask:0xf bank_mask:0xf
	s_waitcnt vmcnt(3)
	v_mov_b32_dpp v12, v26 quad_perm:[3,0,1,2] row_mask:0xf bank_mask:0xf
	v_mov_b32_dpp v13, v27 quad_perm:[3,0,1,2] row_mask:0xf bank_mask:0xf
	scratch_store_dwordx4 off, v[10:13], off offset:1008
	scratch_load_dwordx4 v[10:13], off, off offset:680
	ds_bpermute_b32 v0, v29, v0
	ds_bpermute_b32 v1, v29, v1
	s_waitcnt vmcnt(0)
	v_mov_b32_dpp v10, v10 quad_perm:[1,2,3,0] row_mask:0xf bank_mask:0xf
	v_mov_b32_dpp v11, v11 quad_perm:[1,2,3,0] row_mask:0xf bank_mask:0xf
	scratch_store_dwordx4 off, v[8:11], off offset:672
	scratch_load_dwordx4 v[8:11], off, off offset:696
	v_mov_b32_dpp v12, v12 quad_perm:[1,2,3,0] row_mask:0xf bank_mask:0xf
	v_mov_b32_dpp v13, v13 quad_perm:[1,2,3,0] row_mask:0xf bank_mask:0xf
	s_waitcnt vmcnt(0)
	v_mov_b32_dpp v14, v8 quad_perm:[1,2,3,0] row_mask:0xf bank_mask:0xf
	v_mov_b32_dpp v15, v9 quad_perm:[1,2,3,0] row_mask:0xf bank_mask:0xf
	v_mov_b32_dpp v8, v10 quad_perm:[1,2,3,0] row_mask:0xf bank_mask:0xf
	v_mov_b32_dpp v9, v11 quad_perm:[1,2,3,0] row_mask:0xf bank_mask:0xf
	scratch_store_dwordx4 off, v[12:15], off offset:688
	scratch_load_dwordx4 v[10:13], off, off offset:712
	s_waitcnt vmcnt(0)
	s_nop 0
	v_mov_b32_dpp v10, v10 quad_perm:[1,2,3,0] row_mask:0xf bank_mask:0xf
	v_mov_b32_dpp v11, v11 quad_perm:[1,2,3,0] row_mask:0xf bank_mask:0xf
	scratch_store_dwordx4 off, v[8:11], off offset:704
	scratch_load_dwordx4 v[8:11], off, off offset:728
	v_mov_b32_dpp v12, v12 quad_perm:[1,2,3,0] row_mask:0xf bank_mask:0xf
	v_mov_b32_dpp v13, v13 quad_perm:[1,2,3,0] row_mask:0xf bank_mask:0xf
	s_waitcnt vmcnt(0)
	v_mov_b32_dpp v14, v8 quad_perm:[1,2,3,0] row_mask:0xf bank_mask:0xf
	v_mov_b32_dpp v15, v9 quad_perm:[1,2,3,0] row_mask:0xf bank_mask:0xf
	v_mov_b32_dpp v8, v10 quad_perm:[1,2,3,0] row_mask:0xf bank_mask:0xf
	v_mov_b32_dpp v9, v11 quad_perm:[1,2,3,0] row_mask:0xf bank_mask:0xf
	scratch_store_dwordx4 off, v[12:15], off offset:720
	scratch_load_dwordx4 v[10:13], off, off offset:744
	s_waitcnt vmcnt(0)
	s_nop 0
	;; [unrolled: 15-line block ×5, first 2 shown]
	v_mov_b32_dpp v10, v10 quad_perm:[2,3,0,1] row_mask:0xf bank_mask:0xf
	v_mov_b32_dpp v11, v11 quad_perm:[2,3,0,1] row_mask:0xf bank_mask:0xf
	scratch_store_dwordx4 off, v[8:11], off offset:832
	scratch_load_dwordx2 v[8:9], v6, off offset:384
	s_nop 0
	scratch_load_dwordx2 v[10:11], v6, off offset:416
	v_mov_b32_dpp v12, v12 quad_perm:[2,3,0,1] row_mask:0xf bank_mask:0xf
	v_mov_b32_dpp v13, v13 quad_perm:[2,3,0,1] row_mask:0xf bank_mask:0xf
	s_waitcnt vmcnt(0)
	scratch_store_dwordx4 off, v[8:11], off offset:864
	scratch_load_dwordx4 v[14:17], off, off offset:856
	s_nop 0
	scratch_load_dword v9, off, off offset:876
	v_mov_b32_dpp v8, v10 quad_perm:[2,3,0,1] row_mask:0xf bank_mask:0xf
	s_waitcnt vmcnt(1)
	v_mov_b32_dpp v14, v14 quad_perm:[2,3,0,1] row_mask:0xf bank_mask:0xf
	v_mov_b32_dpp v15, v15 quad_perm:[2,3,0,1] row_mask:0xf bank_mask:0xf
	;; [unrolled: 1-line block ×4, first 2 shown]
	s_waitcnt vmcnt(0)
	v_mov_b32_dpp v9, v9 quad_perm:[2,3,0,1] row_mask:0xf bank_mask:0xf
	scratch_store_dwordx4 off, v[12:15], off offset:848
	scratch_store_dwordx4 off, v[6:9], off offset:864
	scratch_load_dwordx2 v[6:7], off, off offset:520
	s_nop 0
	scratch_load_dwordx2 v[8:9], off, off offset:536
	scratch_load_dwordx2 v[10:11], off, off offset:552
	scratch_load_dwordx2 v[12:13], off, off offset:568
	scratch_load_dwordx2 v[14:15], off, off offset:584
	scratch_load_dwordx2 v[16:17], off, off offset:600
	scratch_load_dwordx2 v[18:19], off, off offset:616
	scratch_load_dwordx2 v[20:21], off, off offset:952
	scratch_load_dwordx2 v[22:23], off, off offset:968
	scratch_load_dwordx2 v[24:25], off, off offset:984
	scratch_load_dwordx2 v[26:27], off, off offset:1000
	scratch_load_dwordx2 v[30:31], off, off offset:1016
	s_waitcnt vmcnt(11)
	ds_bpermute_b32 v6, v29, v6
	ds_bpermute_b32 v7, v29, v7
	s_waitcnt vmcnt(10)
	ds_bpermute_b32 v8, v29, v8
	ds_bpermute_b32 v9, v29, v9
	;; [unrolled: 3-line block ×10, first 2 shown]
	s_waitcnt lgkmcnt(14)
	scratch_store_dwordx2 off, v[6:7], off offset:520
	scratch_store_dwordx2 off, v[8:9], off offset:536
	;; [unrolled: 1-line block ×3, first 2 shown]
	s_waitcnt lgkmcnt(12)
	scratch_store_dwordx2 off, v[12:13], off offset:568
	s_waitcnt lgkmcnt(10)
	scratch_store_dwordx2 off, v[14:15], off offset:584
	;; [unrolled: 2-line block ×4, first 2 shown]
	scratch_store_dwordx2 off, v[4:5], off offset:632
	scratch_store_dwordx2 off, v[2:3], off offset:920
	;; [unrolled: 1-line block ×3, first 2 shown]
	s_waitcnt lgkmcnt(4)
	scratch_store_dwordx2 off, v[20:21], off offset:952
	s_waitcnt lgkmcnt(2)
	scratch_store_dwordx2 off, v[22:23], off offset:968
	;; [unrolled: 2-line block ×3, first 2 shown]
	scratch_load_dwordx2 v[0:1], off, off offset:648
	s_waitcnt vmcnt(15)
	ds_bpermute_b32 v26, v29, v26
	scratch_load_dwordx2 v[2:3], off, off offset:664
	scratch_load_dwordx2 v[4:5], off, off offset:680
	ds_bpermute_b32 v27, v29, v27
	s_waitcnt vmcnt(16)
	ds_bpermute_b32 v30, v29, v30
	ds_bpermute_b32 v31, v29, v31
	s_waitcnt vmcnt(2)
	ds_bpermute_b32 v0, v29, v0
	ds_bpermute_b32 v1, v29, v1
	s_waitcnt vmcnt(1)
	ds_bpermute_b32 v2, v29, v2
	ds_bpermute_b32 v3, v29, v3
	s_waitcnt vmcnt(0)
	ds_bpermute_b32 v4, v29, v4
	ds_bpermute_b32 v5, v29, v5
	s_waitcnt lgkmcnt(8)
	scratch_store_dwordx2 off, v[26:27], off offset:1000
	s_waitcnt lgkmcnt(6)
	scratch_store_dwordx2 off, v[30:31], off offset:1016
	;; [unrolled: 2-line block ×5, first 2 shown]
	scratch_load_dwordx2 v[0:1], off, off offset:696
	scratch_load_dwordx2 v[2:3], off, off offset:712
	s_nop 0
	scratch_load_dwordx2 v[4:5], off, off offset:728
	scratch_load_dwordx2 v[6:7], off, off offset:744
	;; [unrolled: 1-line block ×3, first 2 shown]
	s_waitcnt vmcnt(4)
	ds_bpermute_b32 v0, v29, v0
	ds_bpermute_b32 v1, v29, v1
	s_waitcnt vmcnt(3)
	ds_bpermute_b32 v2, v29, v2
	ds_bpermute_b32 v3, v29, v3
	;; [unrolled: 3-line block ×5, first 2 shown]
	s_waitcnt lgkmcnt(8)
	scratch_store_dwordx2 off, v[0:1], off offset:696
	s_waitcnt lgkmcnt(6)
	scratch_store_dwordx2 off, v[2:3], off offset:712
	s_waitcnt lgkmcnt(4)
	scratch_store_dwordx2 off, v[4:5], off offset:728
	s_waitcnt lgkmcnt(2)
	scratch_store_dwordx2 off, v[6:7], off offset:744
	s_waitcnt lgkmcnt(0)
	scratch_store_dwordx2 off, v[8:9], off offset:760
	v_bfe_u32 v4, v81, 2, 1
	v_xor_b32_e32 v0, 7, v4
	v_xor_b32_e32 v1, 15, v4
	;; [unrolled: 1-line block ×3, first 2 shown]
	v_lshlrev_b32_e32 v0, 3, v0
	v_lshlrev_b32_e32 v1, 3, v1
	;; [unrolled: 1-line block ×3, first 2 shown]
	v_xor_b32_e32 v2, 63, v4
	v_lshlrev_b32_e32 v10, 3, v2
	scratch_load_dwordx2 v[2:3], v0, off offset:512
	scratch_load_dwordx2 v[6:7], v1, off offset:512
	;; [unrolled: 1-line block ×3, first 2 shown]
	s_nop 0
	scratch_load_dwordx2 v[0:1], v10, off offset:512
	s_waitcnt vmcnt(3)
	ds_bpermute_b32 v18, v29, v2
	ds_bpermute_b32 v19, v29, v3
	scratch_load_dwordx2 v[2:3], off, off offset:776
	s_waitcnt vmcnt(3)
	ds_bpermute_b32 v22, v29, v6
	ds_bpermute_b32 v23, v29, v7
	scratch_load_dwordx2 v[6:7], off, off offset:792
	;; [unrolled: 4-line block ×3, first 2 shown]
	scratch_load_dwordx2 v[10:11], off, off offset:824
	s_waitcnt vmcnt(4)
	ds_bpermute_b32 v30, v29, v0
	ds_bpermute_b32 v31, v29, v1
	s_waitcnt vmcnt(3)
	ds_bpermute_b32 v2, v29, v2
	ds_bpermute_b32 v3, v29, v3
	;; [unrolled: 3-line block ×5, first 2 shown]
	s_waitcnt lgkmcnt(6)
	scratch_store_dwordx2 off, v[2:3], off offset:776
	s_waitcnt lgkmcnt(4)
	scratch_store_dwordx2 off, v[6:7], off offset:792
	;; [unrolled: 2-line block ×4, first 2 shown]
	scratch_load_dwordx2 v[0:1], off, off offset:840
	scratch_load_dwordx2 v[2:3], off, off offset:856
	;; [unrolled: 1-line block ×4, first 2 shown]
	s_nop 0
	scratch_load_dwordx2 v[10:11], off, off offset:904
	s_waitcnt vmcnt(3)
	ds_bpermute_b32 v2, v29, v2
	ds_bpermute_b32 v3, v29, v3
	;; [unrolled: 1-line block ×4, first 2 shown]
	s_waitcnt vmcnt(2)
	ds_bpermute_b32 v6, v29, v6
	ds_bpermute_b32 v7, v29, v7
	s_waitcnt vmcnt(1)
	ds_bpermute_b32 v8, v29, v8
	ds_bpermute_b32 v9, v29, v9
	;; [unrolled: 3-line block ×3, first 2 shown]
	s_waitcnt lgkmcnt(6)
	scratch_store_dwordx2 off, v[0:1], off offset:840
	scratch_store_dwordx2 off, v[2:3], off offset:856
	s_waitcnt lgkmcnt(4)
	scratch_store_dwordx2 off, v[6:7], off offset:872
	s_waitcnt lgkmcnt(2)
	;; [unrolled: 2-line block ×3, first 2 shown]
	scratch_store_dwordx2 off, v[10:11], off offset:904
	v_mov_b32_e32 v0, 0x200
	v_xor_b32_e32 v1, 1, v4
	v_lshl_or_b32 v0, v1, 3, v0
	v_xor_b32_e32 v1, 3, v4
	v_lshlrev_b32_e32 v8, 3, v4
	v_lshlrev_b32_e32 v2, 3, v1
	v_sub_u32_e32 v9, 0x200, v8
	scratch_load_dwordx2 v[0:1], v0, off
	s_nop 0
	scratch_load_dwordx2 v[2:3], v2, off offset:512
	s_nop 0
	scratch_load_dwordx2 v[4:5], v9, off offset:40
	scratch_load_dwordx2 v[6:7], v9, off offset:72
	s_waitcnt vmcnt(3)
	ds_bpermute_b32 v32, v29, v0
	ds_bpermute_b32 v33, v29, v1
	s_waitcnt vmcnt(2)
	ds_bpermute_b32 v34, v29, v2
	ds_bpermute_b32 v35, v29, v3
	s_waitcnt vmcnt(1)
	ds_bpermute_b32 v16, v29, v4
	ds_bpermute_b32 v17, v29, v5
	s_waitcnt vmcnt(0)
	ds_bpermute_b32 v36, v29, v6
	ds_bpermute_b32 v37, v29, v7
	scratch_load_dwordx2 v[0:1], v9, off offset:88
	scratch_load_dwordx2 v[2:3], v9, off offset:104
	scratch_load_dwordx2 v[4:5], v9, off offset:136
	scratch_load_dwordx2 v[6:7], v9, off offset:152
	s_waitcnt vmcnt(3)
	ds_bpermute_b32 v38, v29, v0
	ds_bpermute_b32 v39, v29, v1
	s_waitcnt vmcnt(2)
	ds_bpermute_b32 v20, v29, v2
	ds_bpermute_b32 v21, v29, v3
	s_waitcnt vmcnt(1)
	ds_bpermute_b32 v40, v29, v4
	ds_bpermute_b32 v41, v29, v5
	s_waitcnt vmcnt(0)
	ds_bpermute_b32 v42, v29, v6
	ds_bpermute_b32 v43, v29, v7
	scratch_load_dwordx2 v[0:1], v9, off offset:168
	scratch_load_dwordx2 v[2:3], v9, off offset:184
	;; [unrolled: 16-line block ×6, first 2 shown]
	scratch_load_dwordx2 v[4:5], v9, off offset:472
	scratch_load_dwordx2 v[6:7], v9, off offset:488
	s_waitcnt vmcnt(3)
	ds_bpermute_b32 v74, v29, v0
	ds_bpermute_b32 v75, v29, v1
	s_waitcnt vmcnt(2)
	ds_bpermute_b32 v76, v29, v2
	s_waitcnt vmcnt(0)
	ds_bpermute_b32 v28, v29, v6
	v_or_b32_e32 v6, 0x200, v8
	ds_bpermute_b32 v77, v29, v3
	scratch_load_dwordx2 v[124:125], v6, off
	scratch_load_dwordx2 v[126:127], v6, off offset:16
	scratch_load_dwordx2 v[116:117], v6, off offset:32
	;; [unrolled: 1-line block ×23, first 2 shown]
	ds_bpermute_b32 v78, v29, v4
	ds_bpermute_b32 v79, v29, v5
	;; [unrolled: 1-line block ×3, first 2 shown]
	s_waitcnt vmcnt(0)
	scratch_store_dwordx4 off, v[0:3], off offset:1024 ; 16-byte Folded Spill
	scratch_load_dwordx2 v[0:1], v6, off offset:384
	s_nop 0
	scratch_load_dwordx2 v[2:3], v6, off offset:400
	scratch_load_dwordx2 v[12:13], v6, off offset:416
	;; [unrolled: 1-line block ×6, first 2 shown]
	s_nop 0
	scratch_load_dwordx2 v[6:7], v6, off offset:496
	s_cbranch_execz .LBB29_3
	s_branch .LBB29_4
.LBB29_2:
                                        ; implicit-def: $vgpr30_vgpr31
                                        ; implicit-def: $vgpr78_vgpr79
                                        ; implicit-def: $vgpr74_vgpr75
                                        ; implicit-def: $vgpr70_vgpr71
                                        ; implicit-def: $vgpr66_vgpr67
                                        ; implicit-def: $vgpr62_vgpr63
                                        ; implicit-def: $vgpr58_vgpr59
                                        ; implicit-def: $vgpr54_vgpr55
                                        ; implicit-def: $vgpr26_vgpr27
                                        ; implicit-def: $vgpr50_vgpr51
                                        ; implicit-def: $vgpr46_vgpr47
                                        ; implicit-def: $vgpr42_vgpr43
                                        ; implicit-def: $vgpr22_vgpr23
                                        ; implicit-def: $vgpr38_vgpr39
                                        ; implicit-def: $vgpr18_vgpr19
                                        ; implicit-def: $vgpr34_vgpr35
                                        ; implicit-def: $vgpr6_vgpr7
                                        ; implicit-def: $vgpr10_vgpr11
                                        ; implicit-def: $vgpr14_vgpr15
                                        ; implicit-def: $vgpr2_vgpr3
                                        ; implicit-def: $vgpr4_vgpr5
	scratch_store_dwordx4 off, v[2:5], off offset:1024 ; 16-byte Folded Spill
                                        ; implicit-def: $vgpr86_vgpr87
                                        ; implicit-def: $vgpr90_vgpr91
                                        ; implicit-def: $vgpr94_vgpr95
                                        ; implicit-def: $vgpr98_vgpr99
                                        ; implicit-def: $vgpr102_vgpr103
                                        ; implicit-def: $vgpr106_vgpr107
                                        ; implicit-def: $vgpr114_vgpr115
                                        ; implicit-def: $vgpr110_vgpr111
                                        ; implicit-def: $vgpr122_vgpr123
                                        ; implicit-def: $vgpr118_vgpr119
                                        ; implicit-def: $vgpr126_vgpr127
.LBB29_3:
	scratch_load_dwordx4 v[0:3], off, off offset:1536 ; 16-byte Folded Reload
	v_mov_b32_e32 v100, v81
	s_waitcnt vmcnt(0)
	scratch_store_dwordx4 off, v[0:3], off
	scratch_load_dwordx4 v[0:3], off, off offset:1520 ; 16-byte Folded Reload
	s_waitcnt vmcnt(0)
	scratch_store_dwordx4 off, v[0:3], off offset:16
	scratch_load_dwordx4 v[0:3], off, off offset:1504 ; 16-byte Folded Reload
	s_waitcnt vmcnt(0)
	scratch_store_dwordx4 off, v[0:3], off offset:32
	scratch_load_dwordx4 v[0:3], off, off offset:8
	s_waitcnt lgkmcnt(14)
	scratch_load_dwordx2 v[40:41], off, off offset:24
	scratch_load_dwordx4 v[4:7], off, off offset:1488 ; 16-byte Folded Reload
	s_waitcnt vmcnt(2)
	v_mov_b32_dpp v0, v0 quad_perm:[3,0,1,2] row_mask:0xf bank_mask:0xf
	v_mov_b32_dpp v1, v1 quad_perm:[3,0,1,2] row_mask:0xf bank_mask:0xf
	s_waitcnt vmcnt(0)
	scratch_store_dwordx4 off, v[4:7], off offset:48
	scratch_load_dwordx4 v[4:7], off, off offset:40
	s_nop 0
	scratch_load_dwordx4 v[8:11], off, off offset:1472 ; 16-byte Folded Reload
	v_mov_b32_dpp v2, v2 quad_perm:[2,3,0,1] row_mask:0xf bank_mask:0xf
	v_mov_b32_dpp v3, v3 quad_perm:[2,3,0,1] row_mask:0xf bank_mask:0xf
	;; [unrolled: 1-line block ×4, first 2 shown]
	s_waitcnt vmcnt(1)
	v_mov_b32_dpp v4, v4 quad_perm:[3,0,1,2] row_mask:0xf bank_mask:0xf
	s_waitcnt vmcnt(0)
	scratch_store_dwordx4 off, v[8:11], off offset:64
	scratch_load_dwordx2 v[46:47], off, off offset:56
	s_nop 0
	scratch_load_dwordx4 v[8:11], off, off offset:1456 ; 16-byte Folded Reload
	v_mov_b32_dpp v5, v5 quad_perm:[3,0,1,2] row_mask:0xf bank_mask:0xf
	v_mov_b32_dpp v6, v6 quad_perm:[2,3,0,1] row_mask:0xf bank_mask:0xf
	;; [unrolled: 1-line block ×3, first 2 shown]
	s_waitcnt vmcnt(1)
	v_mov_b32_dpp v46, v46 quad_perm:[1,2,3,0] row_mask:0xf bank_mask:0xf
	s_waitcnt vmcnt(0)
	scratch_store_dwordx4 off, v[8:11], off offset:80
	scratch_load_dwordx4 v[16:19], off, off offset:72
	s_nop 0
	scratch_load_dwordx4 v[8:11], off, off offset:1440 ; 16-byte Folded Reload
	v_mov_b32_dpp v47, v47 quad_perm:[1,2,3,0] row_mask:0xf bank_mask:0xf
	s_waitcnt vmcnt(1)
	v_mov_b32_dpp v16, v16 quad_perm:[3,0,1,2] row_mask:0xf bank_mask:0xf
	s_waitcnt vmcnt(0)
	scratch_store_dwordx4 off, v[8:11], off offset:96
	scratch_load_dwordx2 v[50:51], off, off offset:88
	s_nop 0
	scratch_load_dwordx4 v[8:11], off, off offset:1424 ; 16-byte Folded Reload
	v_mov_b32_dpp v17, v17 quad_perm:[3,0,1,2] row_mask:0xf bank_mask:0xf
	v_mov_b32_dpp v18, v18 quad_perm:[2,3,0,1] row_mask:0xf bank_mask:0xf
	;; [unrolled: 1-line block ×3, first 2 shown]
	s_waitcnt vmcnt(1)
	v_mov_b32_dpp v50, v50 quad_perm:[1,2,3,0] row_mask:0xf bank_mask:0xf
	s_waitcnt vmcnt(0)
	scratch_store_dwordx4 off, v[8:11], off offset:112
	scratch_load_dwordx4 v[12:15], off, off offset:104
	scratch_load_dwordx2 v[44:45], off, off offset:120
	s_nop 0
	scratch_load_dwordx4 v[8:11], off, off offset:1376 ; 16-byte Folded Reload
	v_mov_b32_dpp v51, v51 quad_perm:[1,2,3,0] row_mask:0xf bank_mask:0xf
	s_waitcnt vmcnt(2)
	v_mov_b32_dpp v12, v12 quad_perm:[3,0,1,2] row_mask:0xf bank_mask:0xf
	v_mov_b32_dpp v13, v13 quad_perm:[3,0,1,2] row_mask:0xf bank_mask:0xf
	s_waitcnt vmcnt(0)
	scratch_store_dwordx4 off, v[8:11], off offset:128
	scratch_load_dwordx4 v[8:11], off, off offset:1328 ; 16-byte Folded Reload
	v_mov_b32_dpp v14, v14 quad_perm:[2,3,0,1] row_mask:0xf bank_mask:0xf
	v_mov_b32_dpp v15, v15 quad_perm:[2,3,0,1] row_mask:0xf bank_mask:0xf
	s_waitcnt vmcnt(0)
	scratch_store_dwordx4 off, v[8:11], off offset:144
	scratch_load_dwordx4 v[20:23], off, off offset:136
	scratch_load_dwordx2 v[42:43], off, off offset:152
	s_nop 0
	scratch_load_dwordx4 v[8:11], off, off offset:1264 ; 16-byte Folded Reload
	s_waitcnt vmcnt(0)
	scratch_store_dwordx4 off, v[8:11], off offset:160
	scratch_load_dwordx4 v[8:11], off, off offset:1232 ; 16-byte Folded Reload
	s_waitcnt vmcnt(0)
	scratch_store_dwordx4 off, v[8:11], off offset:176
	;; [unrolled: 3-line block ×3, first 2 shown]
	scratch_load_dwordx4 v[8:11], off, off offset:168
	s_nop 0
	scratch_load_dwordx4 v[24:27], off, off offset:1360 ; 16-byte Folded Reload
	s_waitcnt vmcnt(0)
	scratch_store_dwordx4 off, v[24:27], off offset:208
	scratch_load_dwordx4 v[24:27], off, off offset:1216 ; 16-byte Folded Reload
	s_waitcnt vmcnt(0)
	scratch_store_dwordx4 off, v[24:27], off offset:224
	;; [unrolled: 3-line block ×5, first 2 shown]
	scratch_load_dwordx2 v[48:49], off, off offset:184
	s_nop 0
	scratch_load_dwordx4 v[24:27], off, off offset:1312 ; 16-byte Folded Reload
	s_waitcnt lgkmcnt(1)
	scratch_load_dwordx4 v[76:79], off, off offset:1120 ; 16-byte Folded Reload
	s_waitcnt vmcnt(1)
	scratch_store_dwordx4 off, v[24:27], off offset:288
	s_waitcnt vmcnt(1)
	scratch_store_dwordx4 off, v[76:79], off offset:304
	scratch_load_dwordx4 v[24:27], off, off offset:200
	s_waitcnt lgkmcnt(0)
	scratch_load_dwordx4 v[28:31], off, off offset:1296 ; 16-byte Folded Reload
	scratch_load_dwordx4 v[82:85], off, off offset:1104 ; 16-byte Folded Reload
	;; [unrolled: 1-line block ×3, first 2 shown]
	s_waitcnt vmcnt(2)
	scratch_store_dwordx4 off, v[28:31], off offset:320
	scratch_load_dwordx4 v[28:31], off, off offset:1280 ; 16-byte Folded Reload
	s_waitcnt vmcnt(3)
	scratch_store_dwordx2 off, v[82:83], off offset:336
	s_waitcnt vmcnt(3)
	scratch_store_dwordx2 off, v[70:71], off offset:368
	s_waitcnt vmcnt(2)
	scratch_store_dwordx4 off, v[28:31], off offset:352
	scratch_load_dwordx2 v[52:53], off, off offset:216
	s_nop 0
	scratch_load_dwordx4 v[28:31], off, off offset:1248 ; 16-byte Folded Reload
	scratch_load_dwordx4 v[74:77], off, off offset:1088 ; 16-byte Folded Reload
	s_waitcnt vmcnt(1)
	scratch_store_dwordx4 off, v[28:31], off offset:384
	s_waitcnt vmcnt(1)
	scratch_store_dwordx4 off, v[74:77], off offset:400
	scratch_load_dwordx4 v[28:31], off, off offset:232
	scratch_load_dwordx4 v[32:35], off, off offset:1152 ; 16-byte Folded Reload
	s_waitcnt vmcnt(0)
	scratch_store_dwordx4 off, v[32:35], off offset:416
	scratch_load_dwordx4 v[32:35], off, off offset:1136 ; 16-byte Folded Reload
	s_waitcnt vmcnt(0)
	scratch_store_dwordx4 off, v[32:35], off offset:432
	;; [unrolled: 3-line block ×4, first 2 shown]
	scratch_load_dwordx2 v[54:55], off, off offset:248
	s_nop 0
	scratch_load_dwordx4 v[32:35], off, off offset:1056 ; 16-byte Folded Reload
	s_waitcnt vmcnt(0)
	scratch_store_dwordx4 off, v[32:35], off offset:480
	scratch_load_dwordx4 v[32:35], off, off offset:1040 ; 16-byte Folded Reload
	s_waitcnt vmcnt(0)
	scratch_store_dwordx4 off, v[32:35], off offset:496
	scratch_load_dwordx4 v[32:35], off, off offset:264
	s_nop 0
	scratch_load_dwordx2 v[56:57], off, off offset:280
	scratch_load_dwordx4 v[36:39], off, off offset:296
	scratch_load_dword v66, off, off offset:316
	scratch_load_dwordx2 v[58:59], off, off offset:328
	scratch_load_dword v67, off, off offset:340
	scratch_load_dwordx2 v[60:61], off, off offset:360
	;; [unrolled: 2-line block ×3, first 2 shown]
	scratch_load_dwordx2 v[62:63], off, off offset:404
	s_nop 0
	scratch_store_dwordx4 off, v[0:3], off offset:8
	scratch_store_dwordx2 off, v[40:41], off offset:24
	scratch_store_dwordx4 off, v[4:7], off offset:40
	scratch_store_dwordx2 off, v[46:47], off offset:56
	;; [unrolled: 2-line block ×3, first 2 shown]
	scratch_load_dwordx4 v[0:3], off, off offset:424
	scratch_load_dwordx2 v[40:41], off, off offset:440
	v_mov_b32_dpp v4, v44 quad_perm:[1,2,3,0] row_mask:0xf bank_mask:0xf
	scratch_store_dwordx4 off, v[12:15], off offset:104
	v_mov_b32_dpp v5, v45 quad_perm:[1,2,3,0] row_mask:0xf bank_mask:0xf
	scratch_load_dwordx4 v[12:15], off, off offset:456
	scratch_load_dwordx4 v[16:19], off, off offset:488
	v_mov_b32_dpp v6, v22 quad_perm:[2,3,0,1] row_mask:0xf bank_mask:0xf
	scratch_store_dwordx2 off, v[4:5], off offset:120
	v_mov_b32_dpp v4, v20 quad_perm:[3,0,1,2] row_mask:0xf bank_mask:0xf
	v_mov_b32_dpp v5, v21 quad_perm:[3,0,1,2] row_mask:0xf bank_mask:0xf
	scratch_load_dwordx2 v[20:21], off, off offset:472
	v_mov_b32_dpp v7, v23 quad_perm:[2,3,0,1] row_mask:0xf bank_mask:0xf
	scratch_load_dwordx2 v[22:23], off, off offset:504
	s_waitcnt vmcnt(7)
	v_mov_b32_dpp v0, v0 quad_perm:[3,0,1,2] row_mask:0xf bank_mask:0xf
	scratch_store_dwordx4 off, v[4:7], off offset:136
	v_mov_b32_dpp v1, v1 quad_perm:[3,0,1,2] row_mask:0xf bank_mask:0xf
	v_mov_b32_dpp v2, v2 quad_perm:[2,3,0,1] row_mask:0xf bank_mask:0xf
	;; [unrolled: 1-line block ×4, first 2 shown]
	scratch_store_dwordx2 off, v[4:5], off offset:152
	v_mov_b32_dpp v4, v8 quad_perm:[3,0,1,2] row_mask:0xf bank_mask:0xf
	v_mov_b32_dpp v5, v9 quad_perm:[3,0,1,2] row_mask:0xf bank_mask:0xf
	;; [unrolled: 1-line block ×4, first 2 shown]
	scratch_store_dwordx4 off, v[4:7], off offset:168
	v_mov_b32_dpp v3, v3 quad_perm:[2,3,0,1] row_mask:0xf bank_mask:0xf
	scratch_store_dwordx4 off, v[0:3], off offset:424
	v_mov_b32_dpp v4, v48 quad_perm:[1,2,3,0] row_mask:0xf bank_mask:0xf
	v_mov_b32_dpp v5, v49 quad_perm:[1,2,3,0] row_mask:0xf bank_mask:0xf
	scratch_store_dwordx2 off, v[4:5], off offset:184
	v_mov_b32_dpp v4, v24 quad_perm:[3,0,1,2] row_mask:0xf bank_mask:0xf
	v_mov_b32_dpp v5, v25 quad_perm:[3,0,1,2] row_mask:0xf bank_mask:0xf
	;; [unrolled: 1-line block ×4, first 2 shown]
	scratch_store_dwordx4 off, v[4:7], off offset:200
	s_waitcnt vmcnt(12)
	v_mov_b32_dpp v0, v40 quad_perm:[1,2,3,0] row_mask:0xf bank_mask:0xf
	v_mov_b32_dpp v1, v41 quad_perm:[1,2,3,0] row_mask:0xf bank_mask:0xf
	;; [unrolled: 1-line block ×4, first 2 shown]
	scratch_store_dwordx2 off, v[4:5], off offset:216
	v_mov_b32_dpp v4, v28 quad_perm:[3,0,1,2] row_mask:0xf bank_mask:0xf
	v_mov_b32_dpp v5, v29 quad_perm:[3,0,1,2] row_mask:0xf bank_mask:0xf
	;; [unrolled: 1-line block ×4, first 2 shown]
	scratch_store_dwordx4 off, v[4:7], off offset:232
	v_mov_b32_dpp v8, v64 quad_perm:[3,0,1,2] row_mask:0xf bank_mask:0xf
	v_mov_b32_dpp v9, v65 quad_perm:[3,0,1,2] row_mask:0xf bank_mask:0xf
	;; [unrolled: 1-line block ×4, first 2 shown]
	scratch_store_dwordx2 off, v[4:5], off offset:248
	v_mov_b32_dpp v4, v32 quad_perm:[3,0,1,2] row_mask:0xf bank_mask:0xf
	v_mov_b32_dpp v5, v33 quad_perm:[3,0,1,2] row_mask:0xf bank_mask:0xf
	v_mov_b32_dpp v6, v34 quad_perm:[2,3,0,1] row_mask:0xf bank_mask:0xf
	v_mov_b32_dpp v7, v35 quad_perm:[2,3,0,1] row_mask:0xf bank_mask:0xf
	scratch_store_dwordx4 off, v[4:7], off offset:264
	v_mov_b32_dpp v10, v74 quad_perm:[2,3,0,1] row_mask:0xf bank_mask:0xf
	v_mov_b32_dpp v11, v62 quad_perm:[2,3,0,1] row_mask:0xf bank_mask:0xf
	;; [unrolled: 1-line block ×4, first 2 shown]
	scratch_store_dwordx2 off, v[4:5], off offset:280
	v_mov_b32_dpp v4, v36 quad_perm:[3,0,1,2] row_mask:0xf bank_mask:0xf
	v_mov_b32_dpp v5, v37 quad_perm:[3,0,1,2] row_mask:0xf bank_mask:0xf
	;; [unrolled: 1-line block ×4, first 2 shown]
	scratch_store_dwordx2 off, v[0:1], off offset:440
	s_waitcnt vmcnt(16)
	v_mov_b32_dpp v0, v12 quad_perm:[3,0,1,2] row_mask:0xf bank_mask:0xf
	v_mov_b32_dpp v1, v13 quad_perm:[3,0,1,2] row_mask:0xf bank_mask:0xf
	;; [unrolled: 1-line block ×4, first 2 shown]
	scratch_store_dwordx4 off, v[4:7], off offset:296
	scratch_store_dwordx4 off, v[8:11], off offset:392
	;; [unrolled: 1-line block ×3, first 2 shown]
	v_mov_b32_dpp v4, v78 quad_perm:[1,2,3,0] row_mask:0xf bank_mask:0xf
	v_mov_b32_dpp v5, v66 quad_perm:[1,2,3,0] row_mask:0xf bank_mask:0xf
	;; [unrolled: 1-line block ×4, first 2 shown]
	s_waitcnt vmcnt(16)
	v_mov_b32_dpp v0, v20 quad_perm:[1,2,3,0] row_mask:0xf bank_mask:0xf
	v_mov_b32_dpp v1, v21 quad_perm:[1,2,3,0] row_mask:0xf bank_mask:0xf
	scratch_store_dwordx2 off, v[4:5], off offset:312
	v_mov_b32_dpp v4, v58 quad_perm:[3,0,1,2] row_mask:0xf bank_mask:0xf
	v_mov_b32_dpp v5, v59 quad_perm:[3,0,1,2] row_mask:0xf bank_mask:0xf
	;; [unrolled: 1-line block ×4, first 2 shown]
	scratch_store_dwordx2 off, v[8:9], off offset:408
	scratch_store_dwordx2 off, v[0:1], off offset:472
	v_mov_b32_dpp v0, v16 quad_perm:[3,0,1,2] row_mask:0xf bank_mask:0xf
	v_mov_b32_dpp v1, v17 quad_perm:[3,0,1,2] row_mask:0xf bank_mask:0xf
	;; [unrolled: 1-line block ×4, first 2 shown]
	v_add_u32_e32 v8, -1, v81
	scratch_store_dwordx4 off, v[4:7], off offset:328
	scratch_store_dwordx4 off, v[0:3], off offset:488
	v_and_b32_e32 v8, 3, v8
	v_mov_b32_dpp v4, v84 quad_perm:[1,2,3,0] row_mask:0xf bank_mask:0xf
	v_mov_b32_dpp v5, v85 quad_perm:[1,2,3,0] row_mask:0xf bank_mask:0xf
	;; [unrolled: 1-line block ×3, first 2 shown]
	s_waitcnt vmcnt(20)
	v_mov_b32_dpp v0, v22 quad_perm:[1,2,3,0] row_mask:0xf bank_mask:0xf
	v_mov_b32_dpp v1, v23 quad_perm:[1,2,3,0] row_mask:0xf bank_mask:0xf
	v_and_b32_e32 v68, 3, v81
	scratch_store_dwordx2 off, v[4:5], off offset:344
	v_mov_b32_dpp v4, v60 quad_perm:[3,0,1,2] row_mask:0xf bank_mask:0xf
	v_mov_b32_dpp v5, v61 quad_perm:[3,0,1,2] row_mask:0xf bank_mask:0xf
	;; [unrolled: 1-line block ×3, first 2 shown]
	scratch_store_dwordx2 off, v[0:1], off offset:504
	v_lshlrev_b32_e32 v46, 3, v68
	v_lshlrev_b32_e32 v50, 3, v8
	scratch_load_dwordx2 v[24:25], v46, off offset:384
	scratch_load_dwordx2 v[26:27], v46, off offset:416
	;; [unrolled: 1-line block ×4, first 2 shown]
	scratch_load_dwordx2 v[60:61], v50, off
	scratch_load_dwordx2 v[62:63], v50, off offset:32
	v_xor_b32_e32 v96, 2, v68
	scratch_store_dwordx4 off, v[4:7], off offset:360
	scratch_load_dwordx2 v[8:9], v50, off offset:64
	scratch_load_dwordx2 v[10:11], v50, off offset:96
	v_mov_b32_dpp v4, v72 quad_perm:[1,2,3,0] row_mask:0xf bank_mask:0xf
	v_mov_b32_dpp v5, v73 quad_perm:[1,2,3,0] row_mask:0xf bank_mask:0xf
	scratch_store_dwordx2 off, v[4:5], off offset:376
	scratch_load_dwordx2 v[12:13], v50, off offset:128
	scratch_load_dwordx2 v[14:15], v50, off offset:160
	scratch_load_dwordx2 v[20:21], v46, off
	scratch_load_dwordx2 v[22:23], v46, off offset:32
	scratch_load_dwordx2 v[28:29], v46, off offset:64
	;; [unrolled: 1-line block ×14, first 2 shown]
	s_nop 0
	scratch_load_dwordx2 v[46:47], v46, off offset:352
	s_nop 0
	scratch_load_dwordx2 v[64:65], v50, off offset:320
	scratch_load_dwordx2 v[66:67], v50, off offset:352
	scratch_load_dwordx2 v[52:53], v50, off offset:384
	scratch_load_dwordx2 v[54:55], v50, off offset:416
	scratch_load_dwordx2 v[48:49], v50, off offset:448
	s_nop 0
	scratch_load_dwordx2 v[50:51], v50, off offset:480
	v_lshlrev_b32_e32 v94, 3, v96
	scratch_load_dwordx2 v[68:69], v94, off
	scratch_load_dwordx2 v[70:71], v94, off offset:32
	scratch_load_dwordx2 v[72:73], v94, off offset:64
	;; [unrolled: 1-line block ×7, first 2 shown]
	s_nop 0
	scratch_store_dword off, v80, off offset:1040 ; 4-byte Folded Spill
	scratch_load_dwordx2 v[80:81], v94, off offset:256
	s_nop 0
	scratch_load_dwordx2 v[82:83], v94, off offset:288
	scratch_load_dwordx2 v[88:89], v94, off offset:320
	;; [unrolled: 1-line block ×6, first 2 shown]
	s_waitcnt vmcnt(46)
	scratch_store_dwordx4 off, v[0:3], off offset:624
	s_waitcnt vmcnt(45)
	scratch_store_dwordx4 off, v[60:63], off offset:640
	scratch_load_dwordx4 v[0:3], off, off offset:632
	s_waitcnt vmcnt(44)
	scratch_store_dwordx4 off, v[8:11], off offset:656
	scratch_load_dwordx4 v[60:63], off, off offset:648
	s_waitcnt vmcnt(2)
	v_mov_b32_dpp v2, v2 quad_perm:[1,2,3,0] row_mask:0xf bank_mask:0xf
	scratch_store_dwordx4 off, v[12:15], off offset:672
	scratch_store_dwordx4 off, v[16:19], off offset:688
	scratch_load_dwordx4 v[8:11], off, off offset:664
	v_mov_b32_dpp v3, v3 quad_perm:[1,2,3,0] row_mask:0xf bank_mask:0xf
	scratch_load_dwordx4 v[12:15], off, off offset:680
	s_nop 0
	scratch_store_dwordx4 off, v[56:59], off offset:704
	scratch_load_dwordx4 v[16:19], off, off offset:696
	s_nop 0
	scratch_load_dwordx2 v[94:95], v94, off offset:448
	s_nop 0
	scratch_store_dwordx4 off, v[20:23], off offset:512
	scratch_store_dwordx4 off, v[64:67], off offset:720
	scratch_load_dwordx4 v[20:23], off, off offset:712
	s_nop 0
	scratch_store_dwordx4 off, v[28:31], off offset:528
	scratch_store_dwordx4 off, v[32:35], off offset:544
	;; [unrolled: 1-line block ×7, first 2 shown]
	scratch_load_dwordx4 v[24:27], off, off offset:728
	s_nop 0
	scratch_store_dwordx4 off, v[48:51], off offset:752
	scratch_store_dwordx4 off, v[68:71], off offset:768
	;; [unrolled: 1-line block ×5, first 2 shown]
	scratch_load_dwordx4 v[28:31], off, off offset:744
	s_nop 0
	scratch_store_dwordx4 off, v[80:83], off offset:832
	scratch_store_dwordx4 off, v[88:91], off offset:848
	;; [unrolled: 1-line block ×3, first 2 shown]
	scratch_store_dwordx2 off, v[92:93], off offset:888
	scratch_load_dwordx4 v[32:35], off, off offset:760
	scratch_load_dwordx4 v[36:39], off, off offset:776
	v_add_u32_e32 v4, 3, v96
	v_and_b32_e32 v5, 3, v4
	v_lshlrev_b32_e32 v5, 3, v5
	scratch_load_dwordx2 v[66:67], v5, off
	scratch_load_dwordx2 v[90:91], v5, off offset:64
	scratch_load_dwordx2 v[88:89], v5, off offset:128
	;; [unrolled: 1-line block ×3, first 2 shown]
	scratch_load_dwordx4 v[40:43], off, off offset:792
	v_lshlrev_b32_e32 v4, 3, v4
	v_or_b32_e32 v7, 32, v4
	v_or_b32_e32 v44, 0x60, v4
	;; [unrolled: 1-line block ×4, first 2 shown]
	scratch_load_dwordx2 v[72:73], v7, off
	scratch_load_dwordx2 v[98:99], v44, off
	;; [unrolled: 1-line block ×4, first 2 shown]
	s_nop 0
	scratch_load_dwordx4 v[44:47], off, off offset:808
	scratch_load_dwordx2 v[80:81], v5, off offset:256
	scratch_load_dwordx2 v[78:79], v5, off offset:320
	;; [unrolled: 1-line block ×4, first 2 shown]
	scratch_load_dwordx4 v[48:51], off, off offset:824
	v_or_b32_e32 v7, 0x120, v4
	v_or_b32_e32 v52, 0x160, v4
	;; [unrolled: 1-line block ×4, first 2 shown]
	scratch_load_dwordx2 v[86:87], v7, off
	scratch_load_dwordx2 v[84:85], v52, off
	;; [unrolled: 1-line block ×4, first 2 shown]
	s_waitcnt vmcnt(49)
	v_mov_b32_dpp v4, v60 quad_perm:[1,2,3,0] row_mask:0xf bank_mask:0xf
	scratch_load_dwordx4 v[52:55], off, off offset:840
	scratch_load_dwordx4 v[56:59], off, off offset:856
	v_mov_b32_dpp v5, v61 quad_perm:[1,2,3,0] row_mask:0xf bank_mask:0xf
	scratch_store_dwordx4 off, v[2:5], off offset:640
	scratch_load_dwordx2 v[60:61], off, off offset:648
	s_nop 0
	v_mov_b32_dpp v2, v62 quad_perm:[1,2,3,0] row_mask:0xf bank_mask:0xf
	v_mov_b32_dpp v3, v63 quad_perm:[1,2,3,0] row_mask:0xf bank_mask:0xf
	scratch_load_dword v62, off, off offset:876
	s_waitcnt vmcnt(51)
	v_mov_b32_dpp v4, v8 quad_perm:[1,2,3,0] row_mask:0xf bank_mask:0xf
	v_mov_b32_dpp v5, v9 quad_perm:[1,2,3,0] row_mask:0xf bank_mask:0xf
	;; [unrolled: 1-line block ×4, first 2 shown]
	s_waitcnt vmcnt(50)
	v_mov_b32_dpp v10, v12 quad_perm:[1,2,3,0] row_mask:0xf bank_mask:0xf
	v_mov_b32_dpp v11, v13 quad_perm:[1,2,3,0] row_mask:0xf bank_mask:0xf
	scratch_store_dwordx4 off, v[8:11], off offset:672
	s_waitcnt vmcnt(45)
	v_mov_b32_dpp v12, v20 quad_perm:[1,2,3,0] row_mask:0xf bank_mask:0xf
	v_mov_b32_dpp v13, v21 quad_perm:[1,2,3,0] row_mask:0xf bank_mask:0xf
	;; [unrolled: 1-line block ×6, first 2 shown]
	scratch_store_dwordx4 off, v[8:11], off offset:688
	scratch_store_dwordx4 off, v[2:5], off offset:656
	scratch_load_dwordx2 v[2:3], off, off offset:664
	v_mov_b32_dpp v10, v18 quad_perm:[1,2,3,0] row_mask:0xf bank_mask:0xf
	scratch_load_dwordx2 v[4:5], off, off offset:680
	scratch_load_dwordx2 v[8:9], off, off offset:696
	v_mov_b32_dpp v11, v19 quad_perm:[1,2,3,0] row_mask:0xf bank_mask:0xf
	scratch_store_dwordx4 off, v[10:13], off offset:704
	scratch_load_dword v63, off, off offset:892
	s_nop 0
	scratch_load_dwordx2 v[10:11], off, off offset:712
	v_mov_b32_dpp v12, v22 quad_perm:[1,2,3,0] row_mask:0xf bank_mask:0xf
	v_mov_b32_dpp v13, v23 quad_perm:[1,2,3,0] row_mask:0xf bank_mask:0xf
	s_waitcnt vmcnt(45)
	v_mov_b32_dpp v14, v24 quad_perm:[1,2,3,0] row_mask:0xf bank_mask:0xf
	v_mov_b32_dpp v15, v25 quad_perm:[1,2,3,0] row_mask:0xf bank_mask:0xf
	scratch_store_dwordx4 off, v[12:15], off offset:720
	s_waitcnt vmcnt(40)
	v_mov_b32_dpp v16, v28 quad_perm:[1,2,3,0] row_mask:0xf bank_mask:0xf
	v_mov_b32_dpp v17, v29 quad_perm:[1,2,3,0] row_mask:0xf bank_mask:0xf
	v_mov_b32_dpp v14, v26 quad_perm:[1,2,3,0] row_mask:0xf bank_mask:0xf
	v_mov_b32_dpp v15, v27 quad_perm:[1,2,3,0] row_mask:0xf bank_mask:0xf
	scratch_store_dwordx4 off, v[14:17], off offset:736
	s_waitcnt vmcnt(36)
	v_mov_b32_dpp v18, v32 quad_perm:[1,2,3,0] row_mask:0xf bank_mask:0xf
	v_mov_b32_dpp v19, v33 quad_perm:[1,2,3,0] row_mask:0xf bank_mask:0xf
	;; [unrolled: 6-line block ×4, first 2 shown]
	v_mov_b32_dpp v20, v38 quad_perm:[2,3,0,1] row_mask:0xf bank_mask:0xf
	v_mov_b32_dpp v21, v39 quad_perm:[2,3,0,1] row_mask:0xf bank_mask:0xf
	scratch_load_dwordx2 v[40:41], off, off offset:520
	scratch_load_dwordx2 v[12:13], off, off offset:728
	;; [unrolled: 1-line block ×3, first 2 shown]
	s_waitcnt vmcnt(30)
	v_mov_b32_dpp v24, v44 quad_perm:[2,3,0,1] row_mask:0xf bank_mask:0xf
	scratch_store_dwordx4 off, v[20:23], off offset:784
	v_mov_b32_dpp v25, v45 quad_perm:[2,3,0,1] row_mask:0xf bank_mask:0xf
	s_waitcnt vmcnt(26)
	v_mov_b32_dpp v26, v48 quad_perm:[2,3,0,1] row_mask:0xf bank_mask:0xf
	v_mov_b32_dpp v22, v42 quad_perm:[2,3,0,1] row_mask:0xf bank_mask:0xf
	;; [unrolled: 1-line block ×3, first 2 shown]
	scratch_load_dwordx2 v[42:43], off, off offset:536
	v_mov_b32_dpp v27, v49 quad_perm:[2,3,0,1] row_mask:0xf bank_mask:0xf
	scratch_store_dwordx4 off, v[22:25], off offset:800
	scratch_load_dwordx2 v[16:17], off, off offset:760
	scratch_load_dwordx2 v[18:19], off, off offset:776
	;; [unrolled: 1-line block ×3, first 2 shown]
	v_mov_b32_dpp v24, v46 quad_perm:[2,3,0,1] row_mask:0xf bank_mask:0xf
	scratch_load_dwordx2 v[22:23], off, off offset:808
	v_mov_b32_dpp v25, v47 quad_perm:[2,3,0,1] row_mask:0xf bank_mask:0xf
	scratch_store_dwordx4 off, v[24:27], off offset:816
	scratch_load_dwordx2 v[38:39], off, off offset:552
	s_nop 0
	scratch_load_dwordx2 v[24:25], off, off offset:824
	v_mov_b32_dpp v26, v50 quad_perm:[2,3,0,1] row_mask:0xf bank_mask:0xf
	v_mov_b32_dpp v27, v51 quad_perm:[2,3,0,1] row_mask:0xf bank_mask:0xf
	s_waitcnt vmcnt(30)
	v_mov_b32_dpp v28, v52 quad_perm:[2,3,0,1] row_mask:0xf bank_mask:0xf
	v_mov_b32_dpp v29, v53 quad_perm:[2,3,0,1] row_mask:0xf bank_mask:0xf
	scratch_load_dwordx2 v[32:33], off, off offset:568
	v_mov_b32_dpp v48, v90 quad_perm:[3,0,1,2] row_mask:0xf bank_mask:0xf
	scratch_store_dwordx4 off, v[26:29], off offset:832
	scratch_load_dwordx2 v[30:31], off, off offset:584
	s_nop 0
	scratch_load_dwordx2 v[26:27], off, off offset:840
	scratch_load_dwordx2 v[34:35], off, off offset:600
	;; [unrolled: 1-line block ×3, first 2 shown]
	v_mov_b32_dpp v49, v91 quad_perm:[3,0,1,2] row_mask:0xf bank_mask:0xf
	v_mov_b32_dpp v50, v98 quad_perm:[3,0,1,2] row_mask:0xf bank_mask:0xf
	;; [unrolled: 1-line block ×5, first 2 shown]
	s_waitcnt vmcnt(35)
	v_mov_b32_dpp v46, v56 quad_perm:[2,3,0,1] row_mask:0xf bank_mask:0xf
	v_mov_b32_dpp v47, v57 quad_perm:[2,3,0,1] row_mask:0xf bank_mask:0xf
	scratch_store_dwordx4 off, v[48:51], off offset:912
	scratch_store_dwordx4 off, v[44:47], off offset:848
	s_nop 0
	v_mov_b32_dpp v48, v88 quad_perm:[3,0,1,2] row_mask:0xf bank_mask:0xf
	v_mov_b32_dpp v49, v89 quad_perm:[3,0,1,2] row_mask:0xf bank_mask:0xf
	;; [unrolled: 1-line block ×7, first 2 shown]
	scratch_store_dwordx4 off, v[48:51], off offset:928
	s_waitcnt vmcnt(35)
	v_mov_b32_dpp v47, v62 quad_perm:[2,3,0,1] row_mask:0xf bank_mask:0xf
	scratch_load_dwordx2 v[6:7], off, off offset:920
	scratch_load_dwordx2 v[28:29], off, off offset:936
	;; [unrolled: 1-line block ×3, first 2 shown]
	s_nop 0
	scratch_store_dwordx4 off, v[44:47], off offset:864
	scratch_load_dwordx2 v[50:51], off, off offset:872
	s_nop 0
	v_mov_b32_dpp v44, v94 quad_perm:[2,3,0,1] row_mask:0xf bank_mask:0xf
	v_mov_b32_dpp v45, v95 quad_perm:[2,3,0,1] row_mask:0xf bank_mask:0xf
	;; [unrolled: 1-line block ×3, first 2 shown]
	s_waitcnt vmcnt(32)
	v_mov_b32_dpp v47, v63 quad_perm:[2,3,0,1] row_mask:0xf bank_mask:0xf
	scratch_store_dwordx4 off, v[44:47], off offset:880
	scratch_load_dwordx2 v[52:53], off, off offset:888
	s_nop 0
	v_mov_b32_dpp v44, v66 quad_perm:[3,0,1,2] row_mask:0xf bank_mask:0xf
	v_mov_b32_dpp v45, v67 quad_perm:[3,0,1,2] row_mask:0xf bank_mask:0xf
	;; [unrolled: 1-line block ×4, first 2 shown]
	scratch_store_dwordx4 off, v[44:47], off offset:896
	scratch_load_dwordx2 v[54:55], off, off offset:904
	s_nop 0
	v_mov_b32_dpp v44, v64 quad_perm:[3,0,1,2] row_mask:0xf bank_mask:0xf
	v_mov_b32_dpp v45, v65 quad_perm:[3,0,1,2] row_mask:0xf bank_mask:0xf
	v_mov_b32_dpp v46, v70 quad_perm:[3,0,1,2] row_mask:0xf bank_mask:0xf
	v_mov_b32_dpp v47, v71 quad_perm:[3,0,1,2] row_mask:0xf bank_mask:0xf
	scratch_store_dwordx4 off, v[44:47], off offset:944
	s_nop 1
	v_mov_b32_dpp v44, v80 quad_perm:[3,0,1,2] row_mask:0xf bank_mask:0xf
	v_mov_b32_dpp v45, v81 quad_perm:[3,0,1,2] row_mask:0xf bank_mask:0xf
	v_mov_b32_dpp v46, v86 quad_perm:[3,0,1,2] row_mask:0xf bank_mask:0xf
	v_mov_b32_dpp v47, v87 quad_perm:[3,0,1,2] row_mask:0xf bank_mask:0xf
	scratch_store_dwordx4 off, v[44:47], off offset:960
	;; [unrolled: 6-line block ×4, first 2 shown]
	s_nop 1
	v_lshlrev_b32_e32 v46, 2, v100
	v_xor_b32_e32 v80, 16, v46
	s_waitcnt vmcnt(34)
	ds_bpermute_b32 v40, v80, v40
	ds_bpermute_b32 v41, v80, v41
	s_waitcnt vmcnt(30)
	ds_bpermute_b32 v42, v80, v42
	ds_bpermute_b32 v43, v80, v43
	v_mov_b32_dpp v44, v68 quad_perm:[3,0,1,2] row_mask:0xf bank_mask:0xf
	v_mov_b32_dpp v45, v69 quad_perm:[3,0,1,2] row_mask:0xf bank_mask:0xf
	;; [unrolled: 1-line block ×4, first 2 shown]
	scratch_store_dwordx4 off, v[44:47], off offset:1008
	s_waitcnt lgkmcnt(2)
	scratch_store_dwordx2 off, v[40:41], off offset:520
	s_waitcnt lgkmcnt(0)
	scratch_store_dwordx2 off, v[42:43], off offset:536
	scratch_load_dwordx2 v[40:41], off, off offset:952
	s_waitcnt vmcnt(27)
	ds_bpermute_b32 v38, v80, v38
	scratch_load_dwordx2 v[42:43], off, off offset:968
	scratch_load_dwordx2 v[44:45], off, off offset:984
	;; [unrolled: 1-line block ×4, first 2 shown]
	ds_bpermute_b32 v39, v80, v39
	s_waitcnt vmcnt(29)
	ds_bpermute_b32 v32, v80, v32
	ds_bpermute_b32 v33, v80, v33
	s_waitcnt vmcnt(27)
	ds_bpermute_b32 v30, v80, v30
	ds_bpermute_b32 v31, v80, v31
	s_waitcnt vmcnt(25)
	ds_bpermute_b32 v34, v80, v34
	ds_bpermute_b32 v35, v80, v35
	s_waitcnt vmcnt(24)
	ds_bpermute_b32 v36, v80, v36
	ds_bpermute_b32 v37, v80, v37
	ds_bpermute_b32 v0, v80, v0
	;; [unrolled: 1-line block ×3, first 2 shown]
	s_waitcnt lgkmcnt(10)
	scratch_store_dwordx2 off, v[38:39], off offset:552
	s_waitcnt lgkmcnt(8)
	scratch_store_dwordx2 off, v[32:33], off offset:568
	;; [unrolled: 2-line block ×5, first 2 shown]
	ds_bpermute_b32 v30, v80, v60
	ds_bpermute_b32 v31, v80, v61
	;; [unrolled: 1-line block ×8, first 2 shown]
	s_waitcnt lgkmcnt(8)
	scratch_store_dwordx2 off, v[0:1], off offset:632
	s_waitcnt lgkmcnt(6)
	scratch_store_dwordx2 off, v[30:31], off offset:648
	s_waitcnt lgkmcnt(4)
	scratch_store_dwordx2 off, v[2:3], off offset:664
	s_waitcnt lgkmcnt(2)
	scratch_store_dwordx2 off, v[4:5], off offset:680
	s_waitcnt lgkmcnt(0)
	scratch_store_dwordx2 off, v[8:9], off offset:696
	ds_bpermute_b32 v0, v80, v10
	ds_bpermute_b32 v1, v80, v11
	;; [unrolled: 1-line block ×10, first 2 shown]
	s_waitcnt lgkmcnt(8)
	scratch_store_dwordx2 off, v[0:1], off offset:712
	s_waitcnt lgkmcnt(6)
	scratch_store_dwordx2 off, v[2:3], off offset:728
	;; [unrolled: 2-line block ×5, first 2 shown]
	ds_bpermute_b32 v0, v80, v20
	ds_bpermute_b32 v1, v80, v21
	;; [unrolled: 1-line block ×8, first 2 shown]
	s_waitcnt vmcnt(33)
	ds_bpermute_b32 v10, v80, v48
	ds_bpermute_b32 v11, v80, v49
	s_waitcnt lgkmcnt(8)
	scratch_store_dwordx2 off, v[0:1], off offset:792
	s_waitcnt lgkmcnt(6)
	scratch_store_dwordx2 off, v[2:3], off offset:808
	;; [unrolled: 2-line block ×5, first 2 shown]
	s_waitcnt vmcnt(36)
	ds_bpermute_b32 v0, v80, v50
	ds_bpermute_b32 v1, v80, v51
	s_waitcnt vmcnt(34)
	ds_bpermute_b32 v2, v80, v52
	ds_bpermute_b32 v3, v80, v53
	;; [unrolled: 3-line block ×3, first 2 shown]
	ds_bpermute_b32 v6, v80, v6
	ds_bpermute_b32 v7, v80, v7
	;; [unrolled: 1-line block ×4, first 2 shown]
	s_waitcnt lgkmcnt(8)
	scratch_store_dwordx2 off, v[0:1], off offset:872
	s_waitcnt lgkmcnt(6)
	scratch_store_dwordx2 off, v[2:3], off offset:888
	;; [unrolled: 2-line block ×5, first 2 shown]
	s_waitcnt vmcnt(29)
	ds_bpermute_b32 v0, v80, v40
	ds_bpermute_b32 v1, v80, v41
	s_waitcnt vmcnt(28)
	ds_bpermute_b32 v2, v80, v42
	ds_bpermute_b32 v3, v80, v43
	;; [unrolled: 3-line block ×5, first 2 shown]
	s_waitcnt lgkmcnt(8)
	scratch_store_dwordx2 off, v[0:1], off offset:952
	s_waitcnt lgkmcnt(6)
	scratch_store_dwordx2 off, v[2:3], off offset:968
	;; [unrolled: 2-line block ×5, first 2 shown]
	v_bfe_u32 v4, v100, 2, 1
	v_mov_b32_e32 v1, 0x200
	v_xor_b32_e32 v2, 1, v4
	v_lshlrev_b32_e32 v0, 3, v4
	v_lshl_or_b32 v1, v2, 3, v1
	v_xor_b32_e32 v2, 3, v4
	v_lshlrev_b32_e32 v2, 3, v2
	v_sub_u32_e32 v3, 0x200, v0
	scratch_load_dwordx2 v[16:17], v1, off
	scratch_load_dwordx2 v[18:19], v2, off offset:512
	scratch_load_dwordx2 v[20:21], v3, off offset:40
	v_xor_b32_e32 v1, 7, v4
	v_lshlrev_b32_e32 v1, 3, v1
	scratch_load_dwordx2 v[22:23], v1, off offset:512
	scratch_load_dwordx2 v[36:37], v3, off offset:72
	;; [unrolled: 1-line block ×4, first 2 shown]
	v_xor_b32_e32 v1, 15, v4
	v_lshlrev_b32_e32 v1, 3, v1
	scratch_load_dwordx2 v[42:43], v1, off offset:512
	scratch_load_dwordx2 v[44:45], v3, off offset:136
	;; [unrolled: 1-line block ×8, first 2 shown]
	v_xor_b32_e32 v1, 31, v4
	v_xor_b32_e32 v4, 63, v4
	v_lshlrev_b32_e32 v1, 3, v1
	v_lshlrev_b32_e32 v4, 3, v4
	scratch_load_dwordx2 v[26:27], v1, off offset:512
	scratch_load_dwordx2 v[52:53], v3, off offset:264
	;; [unrolled: 1-line block ×7, first 2 shown]
	v_or_b32_e32 v81, 0x200, v0
	scratch_load_dwordx2 v[30:31], v3, off offset:360
	scratch_load_dwordx2 v[28:29], v3, off offset:376
	;; [unrolled: 1-line block ×4, first 2 shown]
	scratch_load_dwordx2 v[124:125], v81, off
	scratch_load_dwordx2 v[126:127], v81, off offset:16
	scratch_load_dwordx2 v[116:117], v81, off offset:32
	;; [unrolled: 1-line block ×11, first 2 shown]
	s_nop 0
	scratch_load_dwordx2 v[2:3], v3, off offset:488
	s_nop 0
	scratch_load_dwordx2 v[4:5], v4, off offset:512
	;; [unrolled: 2-line block ×3, first 2 shown]
	scratch_load_dwordx2 v[114:115], v81, off offset:144
	scratch_load_dwordx2 v[104:105], v81, off offset:160
	;; [unrolled: 1-line block ×15, first 2 shown]
	s_waitcnt vmcnt(31)
	ds_bpermute_b32 v68, v80, v14
	ds_bpermute_b32 v69, v80, v15
	;; [unrolled: 1-line block ×15, first 2 shown]
	s_waitcnt vmcnt(0)
	scratch_store_dwordx4 off, v[32:35], off offset:1024 ; 16-byte Folded Spill
	ds_bpermute_b32 v32, v80, v16
	ds_bpermute_b32 v33, v80, v17
	;; [unrolled: 1-line block ×47, first 2 shown]
	scratch_load_dwordx2 v[0:1], v81, off offset:384
	scratch_load_dwordx2 v[2:3], v81, off offset:400
	;; [unrolled: 1-line block ×4, first 2 shown]
	ds_bpermute_b32 v30, v80, v4
	ds_bpermute_b32 v31, v80, v5
	scratch_load_dword v80, off, off offset:1040 ; 4-byte Folded Reload
	scratch_load_dwordx2 v[8:9], v81, off offset:448
	scratch_load_dwordx2 v[10:11], v81, off offset:464
	;; [unrolled: 1-line block ×4, first 2 shown]
.LBB29_4:
	s_waitcnt vmcnt(4)
	v_lshlrev_b32_e32 v80, 3, v80
	global_store_dwordx4 v80, v[124:127], s[6:7]
	global_store_dwordx4 v80, v[116:119], s[6:7] offset:16
	global_store_dwordx4 v80, v[120:123], s[6:7] offset:32
	;; [unrolled: 1-line block ×10, first 2 shown]
	scratch_load_dwordx4 v[82:85], off, off offset:1024 ; 16-byte Folded Reload
	s_waitcnt vmcnt(0)
	global_store_dwordx4 v80, v[82:85], s[6:7] offset:176
	global_store_dwordx4 v80, v[0:3], s[6:7] offset:192
	;; [unrolled: 1-line block ×5, first 2 shown]
	s_waitcnt lgkmcnt(14)
	global_store_dwordx4 v80, v[32:35], s[6:7] offset:256
	global_store_dwordx4 v80, v[16:19], s[6:7] offset:272
	;; [unrolled: 1-line block ×12, first 2 shown]
	s_waitcnt lgkmcnt(10)
	global_store_dwordx4 v80, v[68:71], s[6:7] offset:448
	s_waitcnt lgkmcnt(6)
	global_store_dwordx4 v80, v[72:75], s[6:7] offset:464
	;; [unrolled: 2-line block ×4, first 2 shown]
	s_endpgm
	.section	.rodata,"a",@progbits
	.p2align	6, 0x0
	.amdhsa_kernel _Z20warp_exchange_kernelILj64ELj8EN6common25BlockedToStripedShuffleOpElEvPT2_S3_b
		.amdhsa_group_segment_fixed_size 0
		.amdhsa_private_segment_fixed_size 1568
		.amdhsa_kernarg_size 20
		.amdhsa_user_sgpr_count 2
		.amdhsa_user_sgpr_dispatch_ptr 0
		.amdhsa_user_sgpr_queue_ptr 0
		.amdhsa_user_sgpr_kernarg_segment_ptr 1
		.amdhsa_user_sgpr_dispatch_id 0
		.amdhsa_user_sgpr_kernarg_preload_length 0
		.amdhsa_user_sgpr_kernarg_preload_offset 0
		.amdhsa_user_sgpr_private_segment_size 0
		.amdhsa_uses_dynamic_stack 0
		.amdhsa_enable_private_segment 1
		.amdhsa_system_sgpr_workgroup_id_x 1
		.amdhsa_system_sgpr_workgroup_id_y 0
		.amdhsa_system_sgpr_workgroup_id_z 0
		.amdhsa_system_sgpr_workgroup_info 0
		.amdhsa_system_vgpr_workitem_id 0
		.amdhsa_next_free_vgpr 128
		.amdhsa_next_free_sgpr 8
		.amdhsa_accum_offset 128
		.amdhsa_reserve_vcc 0
		.amdhsa_float_round_mode_32 0
		.amdhsa_float_round_mode_16_64 0
		.amdhsa_float_denorm_mode_32 3
		.amdhsa_float_denorm_mode_16_64 3
		.amdhsa_dx10_clamp 1
		.amdhsa_ieee_mode 1
		.amdhsa_fp16_overflow 0
		.amdhsa_tg_split 0
		.amdhsa_exception_fp_ieee_invalid_op 0
		.amdhsa_exception_fp_denorm_src 0
		.amdhsa_exception_fp_ieee_div_zero 0
		.amdhsa_exception_fp_ieee_overflow 0
		.amdhsa_exception_fp_ieee_underflow 0
		.amdhsa_exception_fp_ieee_inexact 0
		.amdhsa_exception_int_div_zero 0
	.end_amdhsa_kernel
	.section	.text._Z20warp_exchange_kernelILj64ELj8EN6common25BlockedToStripedShuffleOpElEvPT2_S3_b,"axG",@progbits,_Z20warp_exchange_kernelILj64ELj8EN6common25BlockedToStripedShuffleOpElEvPT2_S3_b,comdat
.Lfunc_end29:
	.size	_Z20warp_exchange_kernelILj64ELj8EN6common25BlockedToStripedShuffleOpElEvPT2_S3_b, .Lfunc_end29-_Z20warp_exchange_kernelILj64ELj8EN6common25BlockedToStripedShuffleOpElEvPT2_S3_b
                                        ; -- End function
	.section	.AMDGPU.csdata,"",@progbits
; Kernel info:
; codeLenInByte = 13884
; NumSgprs: 14
; NumVgprs: 128
; NumAgprs: 0
; TotalNumVgprs: 128
; ScratchSize: 1568
; MemoryBound: 1
; FloatMode: 240
; IeeeMode: 1
; LDSByteSize: 0 bytes/workgroup (compile time only)
; SGPRBlocks: 1
; VGPRBlocks: 15
; NumSGPRsForWavesPerEU: 14
; NumVGPRsForWavesPerEU: 128
; AccumOffset: 128
; Occupancy: 4
; WaveLimiterHint : 1
; COMPUTE_PGM_RSRC2:SCRATCH_EN: 1
; COMPUTE_PGM_RSRC2:USER_SGPR: 2
; COMPUTE_PGM_RSRC2:TRAP_HANDLER: 0
; COMPUTE_PGM_RSRC2:TGID_X_EN: 1
; COMPUTE_PGM_RSRC2:TGID_Y_EN: 0
; COMPUTE_PGM_RSRC2:TGID_Z_EN: 0
; COMPUTE_PGM_RSRC2:TIDIG_COMP_CNT: 0
; COMPUTE_PGM_RSRC3_GFX90A:ACCUM_OFFSET: 31
; COMPUTE_PGM_RSRC3_GFX90A:TG_SPLIT: 0
	.section	.text._Z20warp_exchange_kernelILj32ELj8EN6common25BlockedToStripedShuffleOpEiEvPT2_S3_b,"axG",@progbits,_Z20warp_exchange_kernelILj32ELj8EN6common25BlockedToStripedShuffleOpEiEvPT2_S3_b,comdat
	.protected	_Z20warp_exchange_kernelILj32ELj8EN6common25BlockedToStripedShuffleOpEiEvPT2_S3_b ; -- Begin function _Z20warp_exchange_kernelILj32ELj8EN6common25BlockedToStripedShuffleOpEiEvPT2_S3_b
	.globl	_Z20warp_exchange_kernelILj32ELj8EN6common25BlockedToStripedShuffleOpEiEvPT2_S3_b
	.p2align	8
	.type	_Z20warp_exchange_kernelILj32ELj8EN6common25BlockedToStripedShuffleOpEiEvPT2_S3_b,@function
_Z20warp_exchange_kernelILj32ELj8EN6common25BlockedToStripedShuffleOpEiEvPT2_S3_b: ; @_Z20warp_exchange_kernelILj32ELj8EN6common25BlockedToStripedShuffleOpEiEvPT2_S3_b
; %bb.0:
	s_load_dwordx4 s[4:7], s[0:1], 0x0
	s_load_dword s2, s[0:1], 0x10
	v_lshlrev_b32_e32 v1, 7, v0
	v_lshlrev_b32_e32 v0, 5, v0
	s_waitcnt lgkmcnt(0)
	global_load_dwordx4 v[30:33], v1, s[4:5]
	global_load_dwordx4 v[26:29], v1, s[4:5] offset:16
	global_load_dwordx4 v[22:25], v1, s[4:5] offset:32
	;; [unrolled: 1-line block ×7, first 2 shown]
	v_mbcnt_lo_u32_b32 v1, -1, 0
	s_bitcmp0_b32 s2, 0
	v_mbcnt_hi_u32_b32 v1, -1, v1
	s_cbranch_scc0 .LBB30_2
; %bb.1:
	s_waitcnt vmcnt(7)
	v_mov_b32_dpp v35, v31 quad_perm:[3,0,1,2] row_mask:0xf bank_mask:0xf
	v_mov_b32_dpp v36, v32 quad_perm:[2,3,0,1] row_mask:0xf bank_mask:0xf
	;; [unrolled: 1-line block ×3, first 2 shown]
	v_mov_b32_e32 v34, v30
	scratch_store_dwordx4 off, v[34:37], off
	v_add_u32_e32 v38, -1, v1
	v_and_b32_e32 v38, 3, v38
	s_waitcnt vmcnt(7)
	v_mov_b32_dpp v35, v27 quad_perm:[3,0,1,2] row_mask:0xf bank_mask:0xf
	v_mov_b32_dpp v36, v28 quad_perm:[2,3,0,1] row_mask:0xf bank_mask:0xf
	v_mov_b32_dpp v37, v29 quad_perm:[1,2,3,0] row_mask:0xf bank_mask:0xf
	v_mov_b32_e32 v34, v26
	scratch_store_dwordx4 off, v[34:37], off offset:16
	s_waitcnt vmcnt(2)
	v_mov_b32_dpp v39, v3 quad_perm:[3,0,1,2] row_mask:0xf bank_mask:0xf
	v_mov_b32_dpp v40, v4 quad_perm:[2,3,0,1] row_mask:0xf bank_mask:0xf
	;; [unrolled: 1-line block ×5, first 2 shown]
	v_mov_b32_e32 v34, v22
	scratch_store_dwordx4 off, v[34:37], off offset:32
	v_mov_b32_dpp v41, v5 quad_perm:[1,2,3,0] row_mask:0xf bank_mask:0xf
	s_nop 0
	v_mov_b32_dpp v35, v19 quad_perm:[3,0,1,2] row_mask:0xf bank_mask:0xf
	v_mov_b32_dpp v36, v20 quad_perm:[2,3,0,1] row_mask:0xf bank_mask:0xf
	v_mov_b32_dpp v37, v21 quad_perm:[1,2,3,0] row_mask:0xf bank_mask:0xf
	v_mov_b32_e32 v34, v18
	scratch_store_dwordx4 off, v[34:37], off offset:48
	s_nop 1
	v_mov_b32_dpp v35, v15 quad_perm:[3,0,1,2] row_mask:0xf bank_mask:0xf
	v_mov_b32_dpp v36, v16 quad_perm:[2,3,0,1] row_mask:0xf bank_mask:0xf
	v_mov_b32_dpp v37, v17 quad_perm:[1,2,3,0] row_mask:0xf bank_mask:0xf
	v_mov_b32_e32 v34, v14
	scratch_store_dwordx4 off, v[34:37], off offset:64
	;; [unrolled: 6-line block ×4, first 2 shown]
	s_nop 1
	v_and_b32_e32 v35, 3, v1
	v_mov_b32_e32 v37, 0
	v_lshl_or_b32 v42, v35, 2, v37
	v_xor_b32_e32 v35, 2, v35
	scratch_load_dword v34, v42, off
	scratch_load_dword v43, v42, off offset:16
	scratch_load_dword v36, v42, off offset:32
	scratch_load_dword v44, v42, off offset:48
	v_lshl_or_b32 v45, v38, 2, v37
	v_lshl_or_b32 v50, v35, 2, v37
	scratch_load_dword v46, v45, off
	scratch_load_dword v47, v45, off offset:32
	scratch_load_dword v48, v45, off offset:64
	;; [unrolled: 1-line block ×3, first 2 shown]
	scratch_load_dword v51, v50, off
	scratch_load_dword v52, v50, off offset:32
	scratch_load_dword v53, v42, off offset:80
	v_mov_b32_e32 v38, v2
	scratch_store_dwordx4 off, v[38:41], off offset:112
	scratch_load_dword v41, v42, off offset:112
	s_nop 0
	scratch_load_dword v40, v42, off offset:96
	scratch_load_dword v38, v42, off offset:64
	;; [unrolled: 1-line block ×5, first 2 shown]
	v_add_u32_e32 v39, 3, v35
	v_and_b32_e32 v35, 3, v39
	v_lshl_or_b32 v35, v35, 2, v37
	scratch_load_dword v54, v50, off offset:64
	scratch_load_dword v56, v50, off offset:96
	scratch_load_dword v59, v35, off
	scratch_load_dword v60, v35, off offset:32
	scratch_load_dword v61, v35, off offset:64
	;; [unrolled: 1-line block ×6, first 2 shown]
	v_lshlrev_b32_e32 v35, 2, v1
	v_xor_b32_e32 v66, 16, v35
	v_lshlrev_b32_e32 v69, 2, v39
	scratch_load_dword v67, v50, off offset:112
	scratch_load_dword v68, v50, off offset:16
	s_waitcnt vmcnt(27)
	ds_bpermute_b32 v35, v66, v43
	s_waitcnt vmcnt(25)
	ds_bpermute_b32 v37, v66, v44
	s_waitcnt vmcnt(23)
	v_mov_b32_dpp v44, v47 quad_perm:[1,2,3,0] row_mask:0xf bank_mask:0xf
	v_mov_b32_dpp v42, v46 quad_perm:[1,2,3,0] row_mask:0xf bank_mask:0xf
	s_waitcnt vmcnt(16)
	ds_bpermute_b32 v41, v66, v41
	v_mov_b32_dpp v46, v51 quad_perm:[2,3,0,1] row_mask:0xf bank_mask:0xf
	ds_bpermute_b32 v39, v66, v53
	s_waitcnt lgkmcnt(2)
	scratch_store_dwordx4 off, v[34:37], off offset:128
	s_waitcnt vmcnt(13)
	v_mov_b32_dpp v47, v57 quad_perm:[1,2,3,0] row_mask:0xf bank_mask:0xf
	s_waitcnt vmcnt(9)
	v_mov_b32_dpp v50, v59 quad_perm:[3,0,1,2] row_mask:0xf bank_mask:0xf
	v_or_b32_e32 v35, 0x50, v69
	v_or_b32_e32 v37, 0x70, v69
	scratch_load_dword v35, v35, off
	s_nop 0
	scratch_load_dword v37, v37, off
	v_mov_b32_dpp v36, v49 quad_perm:[1,2,3,0] row_mask:0xf bank_mask:0xf
	s_waitcnt lgkmcnt(0)
	scratch_store_dwordx4 off, v[38:41], off offset:144
	v_mov_b32_dpp v49, v55 quad_perm:[1,2,3,0] row_mask:0xf bank_mask:0xf
	v_mov_b32_dpp v34, v48 quad_perm:[1,2,3,0] row_mask:0xf bank_mask:0xf
	s_waitcnt vmcnt(8)
	v_mov_b32_dpp v41, v63 quad_perm:[1,2,3,0] row_mask:0xf bank_mask:0xf
	ds_bpermute_b32 v43, v66, v41
	v_or_b32_e32 v39, 16, v69
	v_mov_b32_dpp v41, v58 quad_perm:[1,2,3,0] row_mask:0xf bank_mask:0xf
	ds_bpermute_b32 v45, v66, v41
	v_or_b32_e32 v41, 48, v69
	scratch_load_dword v39, v39, off
	v_mov_b32_dpp v48, v52 quad_perm:[2,3,0,1] row_mask:0xf bank_mask:0xf
	scratch_load_dword v41, v41, off
	v_mov_b32_dpp v38, v54 quad_perm:[2,3,0,1] row_mask:0xf bank_mask:0xf
	v_mov_b32_dpp v52, v60 quad_perm:[3,0,1,2] row_mask:0xf bank_mask:0xf
	;; [unrolled: 1-line block ×3, first 2 shown]
	s_waitcnt vmcnt(6)
	v_mov_b32_dpp v51, v68 quad_perm:[2,3,0,1] row_mask:0xf bank_mask:0xf
	v_mov_b32_dpp v53, v64 quad_perm:[2,3,0,1] row_mask:0xf bank_mask:0xf
	;; [unrolled: 1-line block ×6, first 2 shown]
	s_waitcnt lgkmcnt(0)
	scratch_store_dwordx4 off, v[42:45], off offset:160
	s_waitcnt vmcnt(5)
	v_mov_b32_dpp v60, v35 quad_perm:[3,0,1,2] row_mask:0xf bank_mask:0xf
	s_waitcnt vmcnt(4)
	v_mov_b32_dpp v61, v37 quad_perm:[3,0,1,2] row_mask:0xf bank_mask:0xf
	ds_bpermute_b32 v35, v66, v47
	ds_bpermute_b32 v37, v66, v49
	;; [unrolled: 1-line block ×4, first 2 shown]
	s_waitcnt vmcnt(2)
	v_mov_b32_dpp v58, v39 quad_perm:[3,0,1,2] row_mask:0xf bank_mask:0xf
	ds_bpermute_b32 v39, v66, v55
	s_waitcnt vmcnt(1)
	v_mov_b32_dpp v59, v41 quad_perm:[3,0,1,2] row_mask:0xf bank_mask:0xf
	ds_bpermute_b32 v41, v66, v57
	ds_bpermute_b32 v51, v66, v58
	;; [unrolled: 1-line block ×5, first 2 shown]
	s_waitcnt lgkmcnt(8)
	scratch_store_dwordx4 off, v[34:37], off offset:176
	s_waitcnt lgkmcnt(6)
	scratch_store_dwordx4 off, v[46:49], off offset:192
	;; [unrolled: 2-line block ×5, first 2 shown]
	v_bfe_u32 v46, v1, 2, 1
	v_mov_b32_e32 v35, 0x80
	v_xor_b32_e32 v36, 1, v46
	v_xor_b32_e32 v37, 3, v46
	v_lshl_or_b32 v36, v36, 2, v35
	v_lshl_or_b32 v35, v37, 2, v35
	v_xor_b32_e32 v37, 7, v46
	v_lshlrev_b32_e32 v34, 2, v46
	v_lshlrev_b32_e32 v37, 2, v37
	v_sub_u32_e32 v47, 0x80, v34
	scratch_load_dword v48, v37, off offset:128
	scratch_load_dword v49, v36, off
	scratch_load_dword v50, v35, off
	scratch_load_dword v51, v47, off offset:20
	scratch_load_dword v52, v47, off offset:36
	;; [unrolled: 1-line block ×4, first 2 shown]
	v_xor_b32_e32 v35, 15, v46
	v_lshlrev_b32_e32 v35, 2, v35
	v_or_b32_e32 v45, 0x80, v34
	scratch_load_dword v61, v35, off offset:128
	scratch_load_dword v67, v47, off offset:68
	;; [unrolled: 1-line block ×3, first 2 shown]
	scratch_load_dword v38, v45, off
	scratch_load_dword v39, v45, off offset:8
	scratch_load_dword v40, v45, off offset:16
	;; [unrolled: 1-line block ×14, first 2 shown]
	s_nop 0
	scratch_load_dword v45, v45, off offset:120
	v_xor_b32_e32 v46, 31, v46
	v_lshlrev_b32_e32 v46, 2, v46
	scratch_load_dword v69, v46, off offset:128
	scratch_load_dword v70, v47, off offset:116
	s_waitcnt vmcnt(27)
	ds_bpermute_b32 v65, v66, v48
	s_waitcnt vmcnt(26)
	ds_bpermute_b32 v62, v66, v49
	scratch_load_dword v46, v47, off offset:84
	scratch_load_dword v48, v47, off offset:92
	;; [unrolled: 1-line block ×3, first 2 shown]
	s_nop 0
	scratch_load_dword v47, v47, off offset:108
	s_waitcnt vmcnt(29)
	ds_bpermute_b32 v63, v66, v50
	s_waitcnt vmcnt(28)
	ds_bpermute_b32 v64, v66, v51
	;; [unrolled: 2-line block ×12, first 2 shown]
	ds_bpermute_b32 v48, v66, v70
	ds_bpermute_b32 v49, v66, v69
	s_cbranch_execz .LBB30_3
	s_branch .LBB30_4
.LBB30_2:
                                        ; implicit-def: $vgpr48_vgpr49
                                        ; implicit-def: $vgpr52_vgpr53
                                        ; implicit-def: $vgpr60_vgpr61
                                        ; implicit-def: $vgpr64_vgpr65
                                        ; implicit-def: $vgpr44_vgpr45
                                        ; implicit-def: $vgpr56_vgpr57
                                        ; implicit-def: $vgpr36_vgpr37
                                        ; implicit-def: $vgpr40_vgpr41
.LBB30_3:
	s_waitcnt vmcnt(0)
	v_mov_b32_dpp v3, v3 quad_perm:[3,0,1,2] row_mask:0xf bank_mask:0xf
	v_mov_b32_dpp v4, v4 quad_perm:[2,3,0,1] row_mask:0xf bank_mask:0xf
	;; [unrolled: 1-line block ×3, first 2 shown]
	scratch_store_dwordx4 off, v[2:5], off offset:112
	v_mov_b32_dpp v31, v31 quad_perm:[3,0,1,2] row_mask:0xf bank_mask:0xf
	v_mov_b32_dpp v32, v32 quad_perm:[2,3,0,1] row_mask:0xf bank_mask:0xf
	v_add_u32_e32 v4, -1, v1
	v_mov_b32_dpp v33, v33 quad_perm:[1,2,3,0] row_mask:0xf bank_mask:0xf
	v_mov_b32_dpp v27, v27 quad_perm:[3,0,1,2] row_mask:0xf bank_mask:0xf
	v_mov_b32_dpp v28, v28 quad_perm:[2,3,0,1] row_mask:0xf bank_mask:0xf
	v_mov_b32_dpp v29, v29 quad_perm:[1,2,3,0] row_mask:0xf bank_mask:0xf
	v_mov_b32_dpp v23, v23 quad_perm:[3,0,1,2] row_mask:0xf bank_mask:0xf
	v_mov_b32_dpp v24, v24 quad_perm:[2,3,0,1] row_mask:0xf bank_mask:0xf
	v_mov_b32_dpp v25, v25 quad_perm:[1,2,3,0] row_mask:0xf bank_mask:0xf
	v_mov_b32_dpp v19, v19 quad_perm:[3,0,1,2] row_mask:0xf bank_mask:0xf
	v_mov_b32_dpp v20, v20 quad_perm:[2,3,0,1] row_mask:0xf bank_mask:0xf
	v_mov_b32_dpp v21, v21 quad_perm:[1,2,3,0] row_mask:0xf bank_mask:0xf
	v_mov_b32_dpp v15, v15 quad_perm:[3,0,1,2] row_mask:0xf bank_mask:0xf
	v_mov_b32_dpp v16, v16 quad_perm:[2,3,0,1] row_mask:0xf bank_mask:0xf
	v_mov_b32_dpp v17, v17 quad_perm:[1,2,3,0] row_mask:0xf bank_mask:0xf
	v_mov_b32_dpp v11, v11 quad_perm:[3,0,1,2] row_mask:0xf bank_mask:0xf
	v_mov_b32_dpp v12, v12 quad_perm:[2,3,0,1] row_mask:0xf bank_mask:0xf
	v_mov_b32_dpp v13, v13 quad_perm:[1,2,3,0] row_mask:0xf bank_mask:0xf
	v_mov_b32_dpp v7, v7 quad_perm:[3,0,1,2] row_mask:0xf bank_mask:0xf
	v_mov_b32_dpp v8, v8 quad_perm:[2,3,0,1] row_mask:0xf bank_mask:0xf
	v_mov_b32_dpp v9, v9 quad_perm:[1,2,3,0] row_mask:0xf bank_mask:0xf
	v_mov_b32_e32 v3, 0
	v_and_b32_e32 v4, 3, v4
	scratch_store_dwordx4 off, v[30:33], off
	scratch_store_dwordx4 off, v[26:29], off offset:16
	scratch_store_dwordx4 off, v[22:25], off offset:32
	;; [unrolled: 1-line block ×6, first 2 shown]
	v_and_b32_e32 v2, 3, v1
	v_lshl_or_b32 v4, v4, 2, v3
	scratch_load_dword v5, v4, off
	scratch_load_dword v7, v4, off offset:16
	scratch_load_dword v9, v4, off offset:32
	;; [unrolled: 1-line block ×7, first 2 shown]
	v_xor_b32_e32 v4, 2, v2
	v_lshl_or_b32 v6, v4, 2, v3
	v_add_u32_e32 v4, 3, v4
	scratch_load_dword v18, v6, off
	scratch_load_dword v19, v6, off offset:16
	scratch_load_dword v20, v6, off offset:32
	;; [unrolled: 1-line block ×7, first 2 shown]
	v_and_b32_e32 v6, 3, v4
	v_lshlrev_b32_e32 v4, 2, v4
	v_lshl_or_b32 v10, v6, 2, v3
	v_or_b32_e32 v6, 16, v4
	scratch_load_dword v27, v6, off
	v_or_b32_e32 v6, 48, v4
	scratch_load_dword v26, v10, off
	scratch_load_dword v28, v10, off offset:32
	scratch_load_dword v29, v10, off offset:64
	scratch_load_dword v30, v6, off
	v_or_b32_e32 v6, 0x50, v4
	v_lshl_or_b32 v3, v2, 2, v3
	scratch_load_dword v31, v6, off
	scratch_load_dword v2, v3, off
	scratch_load_dword v32, v3, off offset:16
	scratch_load_dword v33, v3, off offset:48
	;; [unrolled: 1-line block ×4, first 2 shown]
	v_or_b32_e32 v4, 0x70, v4
	scratch_load_dword v36, v4, off
	scratch_load_dword v37, v10, off offset:96
	s_nop 0
	scratch_load_dword v4, v3, off offset:32
	scratch_load_dword v6, v3, off offset:64
	;; [unrolled: 1-line block ×3, first 2 shown]
	v_lshlrev_b32_e32 v3, 2, v1
	s_waitcnt lgkmcnt(0)
	v_xor_b32_e32 v49, 16, v3
	v_bfe_u32 v1, v1, 2, 1
	s_waitcnt vmcnt(31)
	v_mov_b32_dpp v10, v5 quad_perm:[1,2,3,0] row_mask:0xf bank_mask:0xf
	s_waitcnt vmcnt(30)
	v_mov_b32_dpp v38, v7 quad_perm:[1,2,3,0] row_mask:0xf bank_mask:0xf
	;; [unrolled: 2-line block ×7, first 2 shown]
	v_mov_b32_dpp v17, v17 quad_perm:[1,2,3,0] row_mask:0xf bank_mask:0xf
	s_waitcnt vmcnt(20)
	v_mov_b32_dpp v21, v21 quad_perm:[2,3,0,1] row_mask:0xf bank_mask:0xf
	ds_bpermute_b32 v15, v49, v15
	ds_bpermute_b32 v17, v49, v17
	s_waitcnt vmcnt(18)
	v_mov_b32_dpp v23, v23 quad_perm:[2,3,0,1] row_mask:0xf bank_mask:0xf
	s_waitcnt vmcnt(16)
	v_mov_b32_dpp v25, v25 quad_perm:[2,3,0,1] row_mask:0xf bank_mask:0xf
	ds_bpermute_b32 v11, v49, v38
	ds_bpermute_b32 v13, v49, v39
	;; [unrolled: 1-line block ×4, first 2 shown]
	s_waitcnt vmcnt(15)
	v_mov_b32_dpp v27, v27 quad_perm:[3,0,1,2] row_mask:0xf bank_mask:0xf
	s_waitcnt vmcnt(11)
	v_mov_b32_dpp v40, v30 quad_perm:[3,0,1,2] row_mask:0xf bank_mask:0xf
	s_waitcnt vmcnt(8)
	ds_bpermute_b32 v3, v49, v32
	s_waitcnt vmcnt(7)
	ds_bpermute_b32 v5, v49, v33
	;; [unrolled: 2-line block ×4, first 2 shown]
	ds_bpermute_b32 v23, v49, v23
	ds_bpermute_b32 v25, v49, v25
	v_mov_b32_dpp v30, v29 quad_perm:[3,0,1,2] row_mask:0xf bank_mask:0xf
	v_mov_b32_dpp v31, v31 quad_perm:[3,0,1,2] row_mask:0xf bank_mask:0xf
	s_waitcnt vmcnt(4)
	v_mov_b32_dpp v33, v36 quad_perm:[3,0,1,2] row_mask:0xf bank_mask:0xf
	ds_bpermute_b32 v27, v49, v27
	ds_bpermute_b32 v29, v49, v40
	v_mov_b32_dpp v16, v16 quad_perm:[1,2,3,0] row_mask:0xf bank_mask:0xf
	s_waitcnt vmcnt(2) lgkmcnt(6)
	scratch_store_dwordx4 off, v[2:5], off offset:128
	s_waitcnt vmcnt(1) lgkmcnt(4)
	scratch_store_dwordx4 off, v[6:9], off offset:144
	scratch_store_dwordx4 off, v[10:13], off offset:160
	ds_bpermute_b32 v31, v49, v31
	ds_bpermute_b32 v33, v49, v33
	v_lshlrev_b32_e32 v2, 2, v1
	v_mov_b32_e32 v3, 0x80
	v_xor_b32_e32 v5, 1, v1
	v_xor_b32_e32 v6, 3, v1
	v_mov_b32_dpp v18, v18 quad_perm:[2,3,0,1] row_mask:0xf bank_mask:0xf
	v_mov_b32_dpp v20, v20 quad_perm:[2,3,0,1] row_mask:0xf bank_mask:0xf
	;; [unrolled: 1-line block ×7, first 2 shown]
	scratch_store_dwordx4 off, v[14:17], off offset:176
	scratch_store_dwordx4 off, v[18:21], off offset:192
	s_waitcnt lgkmcnt(4)
	scratch_store_dwordx4 off, v[22:25], off offset:208
	s_waitcnt lgkmcnt(2)
	;; [unrolled: 2-line block ×3, first 2 shown]
	scratch_store_dwordx4 off, v[30:33], off offset:240
	v_or_b32_e32 v4, 0x80, v2
	v_lshl_or_b32 v5, v5, 2, v3
	v_lshl_or_b32 v3, v6, 2, v3
	v_xor_b32_e32 v6, 7, v1
	v_xor_b32_e32 v7, 15, v1
	scratch_load_dword v38, v4, off
	scratch_load_dword v39, v4, off offset:8
	scratch_load_dword v40, v4, off offset:16
	;; [unrolled: 1-line block ×7, first 2 shown]
	v_lshlrev_b32_e32 v6, 2, v6
	v_lshlrev_b32_e32 v7, 2, v7
	v_sub_u32_e32 v2, 0x80, v2
	scratch_load_dword v6, v6, off offset:128
	s_nop 0
	scratch_load_dword v7, v7, off offset:128
	s_nop 0
	scratch_load_dword v8, v5, off
	scratch_load_dword v9, v3, off
	scratch_load_dword v10, v2, off offset:20
	scratch_load_dword v11, v2, off offset:36
	;; [unrolled: 1-line block ×10, first 2 shown]
	v_xor_b32_e32 v1, 31, v1
	v_lshlrev_b32_e32 v1, 2, v1
	scratch_load_dword v1, v1, off offset:128
	s_nop 0
	scratch_load_dword v3, v2, off offset:116
	scratch_load_dword v54, v4, off offset:64
	;; [unrolled: 1-line block ×9, first 2 shown]
	s_waitcnt vmcnt(23)
	ds_bpermute_b32 v65, v49, v6
	s_waitcnt vmcnt(22)
	ds_bpermute_b32 v61, v49, v7
	;; [unrolled: 2-line block ×15, first 2 shown]
	ds_bpermute_b32 v49, v49, v1
.LBB30_4:
	v_lshlrev_b32_e32 v0, 2, v0
	global_store_dwordx4 v0, v[38:41], s[6:7]
	global_store_dwordx4 v0, v[34:37], s[6:7] offset:16
	s_waitcnt vmcnt(6)
	global_store_dwordx4 v0, v[54:57], s[6:7] offset:32
	s_waitcnt vmcnt(3)
	global_store_dwordx4 v0, v[42:45], s[6:7] offset:48
	s_waitcnt lgkmcnt(11)
	global_store_dwordx4 v0, v[62:65], s[6:7] offset:64
	s_waitcnt lgkmcnt(8)
	;; [unrolled: 2-line block ×4, first 2 shown]
	global_store_dwordx4 v0, v[46:49], s[6:7] offset:112
	s_endpgm
	.section	.rodata,"a",@progbits
	.p2align	6, 0x0
	.amdhsa_kernel _Z20warp_exchange_kernelILj32ELj8EN6common25BlockedToStripedShuffleOpEiEvPT2_S3_b
		.amdhsa_group_segment_fixed_size 0
		.amdhsa_private_segment_fixed_size 272
		.amdhsa_kernarg_size 20
		.amdhsa_user_sgpr_count 2
		.amdhsa_user_sgpr_dispatch_ptr 0
		.amdhsa_user_sgpr_queue_ptr 0
		.amdhsa_user_sgpr_kernarg_segment_ptr 1
		.amdhsa_user_sgpr_dispatch_id 0
		.amdhsa_user_sgpr_kernarg_preload_length 0
		.amdhsa_user_sgpr_kernarg_preload_offset 0
		.amdhsa_user_sgpr_private_segment_size 0
		.amdhsa_uses_dynamic_stack 0
		.amdhsa_enable_private_segment 1
		.amdhsa_system_sgpr_workgroup_id_x 1
		.amdhsa_system_sgpr_workgroup_id_y 0
		.amdhsa_system_sgpr_workgroup_id_z 0
		.amdhsa_system_sgpr_workgroup_info 0
		.amdhsa_system_vgpr_workitem_id 0
		.amdhsa_next_free_vgpr 71
		.amdhsa_next_free_sgpr 8
		.amdhsa_accum_offset 72
		.amdhsa_reserve_vcc 0
		.amdhsa_float_round_mode_32 0
		.amdhsa_float_round_mode_16_64 0
		.amdhsa_float_denorm_mode_32 3
		.amdhsa_float_denorm_mode_16_64 3
		.amdhsa_dx10_clamp 1
		.amdhsa_ieee_mode 1
		.amdhsa_fp16_overflow 0
		.amdhsa_tg_split 0
		.amdhsa_exception_fp_ieee_invalid_op 0
		.amdhsa_exception_fp_denorm_src 0
		.amdhsa_exception_fp_ieee_div_zero 0
		.amdhsa_exception_fp_ieee_overflow 0
		.amdhsa_exception_fp_ieee_underflow 0
		.amdhsa_exception_fp_ieee_inexact 0
		.amdhsa_exception_int_div_zero 0
	.end_amdhsa_kernel
	.section	.text._Z20warp_exchange_kernelILj32ELj8EN6common25BlockedToStripedShuffleOpEiEvPT2_S3_b,"axG",@progbits,_Z20warp_exchange_kernelILj32ELj8EN6common25BlockedToStripedShuffleOpEiEvPT2_S3_b,comdat
.Lfunc_end30:
	.size	_Z20warp_exchange_kernelILj32ELj8EN6common25BlockedToStripedShuffleOpEiEvPT2_S3_b, .Lfunc_end30-_Z20warp_exchange_kernelILj32ELj8EN6common25BlockedToStripedShuffleOpEiEvPT2_S3_b
                                        ; -- End function
	.section	.AMDGPU.csdata,"",@progbits
; Kernel info:
; codeLenInByte = 3528
; NumSgprs: 14
; NumVgprs: 71
; NumAgprs: 0
; TotalNumVgprs: 71
; ScratchSize: 272
; MemoryBound: 1
; FloatMode: 240
; IeeeMode: 1
; LDSByteSize: 0 bytes/workgroup (compile time only)
; SGPRBlocks: 1
; VGPRBlocks: 8
; NumSGPRsForWavesPerEU: 14
; NumVGPRsForWavesPerEU: 71
; AccumOffset: 72
; Occupancy: 7
; WaveLimiterHint : 0
; COMPUTE_PGM_RSRC2:SCRATCH_EN: 1
; COMPUTE_PGM_RSRC2:USER_SGPR: 2
; COMPUTE_PGM_RSRC2:TRAP_HANDLER: 0
; COMPUTE_PGM_RSRC2:TGID_X_EN: 1
; COMPUTE_PGM_RSRC2:TGID_Y_EN: 0
; COMPUTE_PGM_RSRC2:TGID_Z_EN: 0
; COMPUTE_PGM_RSRC2:TIDIG_COMP_CNT: 0
; COMPUTE_PGM_RSRC3_GFX90A:ACCUM_OFFSET: 17
; COMPUTE_PGM_RSRC3_GFX90A:TG_SPLIT: 0
	.section	.text._Z20warp_exchange_kernelILj32ELj64EN6common25BlockedToStripedShuffleOpEaEvPT2_S3_b,"axG",@progbits,_Z20warp_exchange_kernelILj32ELj64EN6common25BlockedToStripedShuffleOpEaEvPT2_S3_b,comdat
	.protected	_Z20warp_exchange_kernelILj32ELj64EN6common25BlockedToStripedShuffleOpEaEvPT2_S3_b ; -- Begin function _Z20warp_exchange_kernelILj32ELj64EN6common25BlockedToStripedShuffleOpEaEvPT2_S3_b
	.globl	_Z20warp_exchange_kernelILj32ELj64EN6common25BlockedToStripedShuffleOpEaEvPT2_S3_b
	.p2align	8
	.type	_Z20warp_exchange_kernelILj32ELj64EN6common25BlockedToStripedShuffleOpEaEvPT2_S3_b,@function
_Z20warp_exchange_kernelILj32ELj64EN6common25BlockedToStripedShuffleOpEaEvPT2_S3_b: ; @_Z20warp_exchange_kernelILj32ELj64EN6common25BlockedToStripedShuffleOpEaEvPT2_S3_b
; %bb.0:
	s_load_dwordx4 s[4:7], s[2:3], 0x0
	s_load_dword s8, s[2:3], 0x10
	v_and_b32_e32 v1, 0x3ff, v0
	v_lshlrev_b32_e32 v36, 5, v1
	v_mbcnt_lo_u32_b32 v2, -1, 0
	s_waitcnt lgkmcnt(0)
	global_load_dwordx4 v[28:31], v36, s[4:5]
	global_load_dwordx4 v[24:27], v36, s[4:5] offset:16
	v_mov_b32_e32 v37, 0
	s_bitcmp0_b32 s8, 0
	v_mbcnt_hi_u32_b32 v38, -1, v2
	s_waitcnt vmcnt(1)
	v_lshrrev_b32_e32 v46, 8, v28
	v_lshrrev_b32_e32 v45, 8, v29
	;; [unrolled: 1-line block ×4, first 2 shown]
	s_waitcnt vmcnt(0)
	v_lshrrev_b32_e32 v42, 8, v24
	v_lshrrev_b32_e32 v41, 8, v25
	;; [unrolled: 1-line block ×4, first 2 shown]
	s_cbranch_scc0 .LBB31_2
; %bb.1:
	s_load_dwordx2 s[0:1], s[0:1], 0x4
	v_bfe_u32 v2, v0, 10, 10
	v_bfe_u32 v0, v0, 20, 10
	s_movk_i32 s2, 0xff
	v_and_b32_sdwa v5, v29, s2 dst_sel:DWORD dst_unused:UNUSED_PAD src0_sel:WORD_1 src1_sel:DWORD
	s_waitcnt lgkmcnt(0)
	s_lshr_b32 s0, s0, 16
	s_mul_i32 s0, s0, s1
	v_mul_lo_u32 v1, s0, v1
	v_mad_u32_u24 v1, v2, s1, v1
	s_mov_b32 s0, 0xffff
	v_add_lshl_u32 v4, v1, v0, 5
	v_and_b32_sdwa v1, s0, v28 dst_sel:DWORD dst_unused:UNUSED_PAD src0_sel:DWORD src1_sel:BYTE_3
	v_and_b32_e32 v2, 0xff, v45
	v_and_b32_sdwa v6, s0, v29 dst_sel:DWORD dst_unused:UNUSED_PAD src0_sel:DWORD src1_sel:BYTE_3
	v_mov_b32_dpp v34, v1 quad_perm:[1,2,3,0] row_mask:0xf bank_mask:0xf
	v_mov_b32_dpp v1, v2 quad_perm:[3,0,1,2] row_mask:0xf bank_mask:0xf
	;; [unrolled: 1-line block ×3, first 2 shown]
	v_and_b32_e32 v3, 0xff, v46
	v_and_b32_e32 v7, 0xff, v44
	v_and_b32_sdwa v8, v30, s2 dst_sel:DWORD dst_unused:UNUSED_PAD src0_sel:WORD_1 src1_sel:DWORD
	v_and_b32_sdwa v9, s0, v30 dst_sel:DWORD dst_unused:UNUSED_PAD src0_sel:DWORD src1_sel:BYTE_3
	v_and_b32_e32 v10, 0xff, v43
	v_and_b32_sdwa v12, s0, v31 dst_sel:DWORD dst_unused:UNUSED_PAD src0_sel:DWORD src1_sel:BYTE_3
	v_mov_b32_dpp v5, v5 quad_perm:[2,3,0,1] row_mask:0xf bank_mask:0xf
	v_lshlrev_b16_e32 v1, 8, v1
	v_lshlrev_b16_e32 v6, 8, v6
	v_and_b32_sdwa v0, v28, s2 dst_sel:DWORD dst_unused:UNUSED_PAD src0_sel:WORD_1 src1_sel:DWORD
	v_and_b32_sdwa v11, v31, s2 dst_sel:DWORD dst_unused:UNUSED_PAD src0_sel:WORD_1 src1_sel:DWORD
	v_mov_b32_dpp v33, v3 quad_perm:[3,0,1,2] row_mask:0xf bank_mask:0xf
	v_mov_b32_dpp v2, v7 quad_perm:[3,0,1,2] row_mask:0xf bank_mask:0xf
	;; [unrolled: 1-line block ×6, first 2 shown]
	v_or_b32_sdwa v1, v29, v1 dst_sel:DWORD dst_unused:UNUSED_PAD src0_sel:BYTE_0 src1_sel:DWORD
	v_or_b32_sdwa v5, v5, v6 dst_sel:WORD_1 dst_unused:UNUSED_PAD src0_sel:BYTE_0 src1_sel:DWORD
	v_mov_b32_dpp v0, v0 quad_perm:[2,3,0,1] row_mask:0xf bank_mask:0xf
	v_mov_b32_dpp v9, v11 quad_perm:[2,3,0,1] row_mask:0xf bank_mask:0xf
	v_lshlrev_b16_e32 v3, 8, v3
	v_lshlrev_b16_e32 v10, 8, v10
	;; [unrolled: 1-line block ×4, first 2 shown]
	v_or_b32_sdwa v1, v1, v5 dst_sel:DWORD dst_unused:UNUSED_PAD src0_sel:WORD_0 src1_sel:DWORD
	v_lshlrev_b16_e32 v5, 8, v33
	v_lshlrev_b16_e32 v6, 8, v34
	v_or_b32_sdwa v3, v31, v3 dst_sel:DWORD dst_unused:UNUSED_PAD src0_sel:BYTE_0 src1_sel:DWORD
	v_or_b32_sdwa v9, v9, v10 dst_sel:WORD_1 dst_unused:UNUSED_PAD src0_sel:BYTE_0 src1_sel:DWORD
	v_or_b32_sdwa v2, v30, v2 dst_sel:DWORD dst_unused:UNUSED_PAD src0_sel:BYTE_0 src1_sel:DWORD
	v_or_b32_sdwa v7, v7, v8 dst_sel:WORD_1 dst_unused:UNUSED_PAD src0_sel:BYTE_0 src1_sel:DWORD
	;; [unrolled: 2-line block ×3, first 2 shown]
	v_and_b32_e32 v13, 0xff, v42
	v_and_b32_sdwa v15, s0, v24 dst_sel:DWORD dst_unused:UNUSED_PAD src0_sel:DWORD src1_sel:BYTE_3
	v_and_b32_e32 v16, 0xff, v41
	v_and_b32_sdwa v18, s0, v25 dst_sel:DWORD dst_unused:UNUSED_PAD src0_sel:DWORD src1_sel:BYTE_3
	;; [unrolled: 2-line block ×4, first 2 shown]
	v_or_b32_sdwa v3, v3, v9 dst_sel:DWORD dst_unused:UNUSED_PAD src0_sel:WORD_0 src1_sel:DWORD
	v_or_b32_sdwa v2, v2, v7 dst_sel:DWORD dst_unused:UNUSED_PAD src0_sel:WORD_0 src1_sel:DWORD
	;; [unrolled: 1-line block ×3, first 2 shown]
	v_and_b32_sdwa v14, v24, s2 dst_sel:DWORD dst_unused:UNUSED_PAD src0_sel:WORD_1 src1_sel:DWORD
	v_and_b32_sdwa v17, v25, s2 dst_sel:DWORD dst_unused:UNUSED_PAD src0_sel:WORD_1 src1_sel:DWORD
	;; [unrolled: 1-line block ×4, first 2 shown]
	ds_write_b128 v4, v[0:3]
	v_mov_b32_dpp v0, v13 quad_perm:[3,0,1,2] row_mask:0xf bank_mask:0xf
	v_mov_b32_dpp v6, v15 quad_perm:[1,2,3,0] row_mask:0xf bank_mask:0xf
	;; [unrolled: 1-line block ×12, first 2 shown]
	v_lshlrev_b16_e32 v3, 8, v3
	v_lshlrev_b16_e32 v12, 8, v12
	;; [unrolled: 1-line block ×8, first 2 shown]
	v_or_b32_sdwa v3, v27, v3 dst_sel:DWORD dst_unused:UNUSED_PAD src0_sel:BYTE_0 src1_sel:DWORD
	v_or_b32_sdwa v11, v11, v12 dst_sel:WORD_1 dst_unused:UNUSED_PAD src0_sel:BYTE_0 src1_sel:DWORD
	v_or_b32_sdwa v2, v26, v2 dst_sel:DWORD dst_unused:UNUSED_PAD src0_sel:BYTE_0 src1_sel:DWORD
	v_or_b32_sdwa v9, v9, v10 dst_sel:WORD_1 dst_unused:UNUSED_PAD src0_sel:BYTE_0 src1_sel:DWORD
	v_or_b32_sdwa v1, v25, v1 dst_sel:DWORD dst_unused:UNUSED_PAD src0_sel:BYTE_0 src1_sel:DWORD
	v_or_b32_sdwa v7, v7, v8 dst_sel:WORD_1 dst_unused:UNUSED_PAD src0_sel:BYTE_0 src1_sel:DWORD
	v_or_b32_sdwa v0, v24, v0 dst_sel:DWORD dst_unused:UNUSED_PAD src0_sel:BYTE_0 src1_sel:DWORD
	v_or_b32_sdwa v5, v5, v6 dst_sel:WORD_1 dst_unused:UNUSED_PAD src0_sel:BYTE_0 src1_sel:DWORD
	v_or_b32_sdwa v3, v3, v11 dst_sel:DWORD dst_unused:UNUSED_PAD src0_sel:WORD_0 src1_sel:DWORD
	v_or_b32_sdwa v2, v2, v9 dst_sel:DWORD dst_unused:UNUSED_PAD src0_sel:WORD_0 src1_sel:DWORD
	v_or_b32_sdwa v1, v1, v7 dst_sel:DWORD dst_unused:UNUSED_PAD src0_sel:WORD_0 src1_sel:DWORD
	v_or_b32_sdwa v0, v0, v5 dst_sel:DWORD dst_unused:UNUSED_PAD src0_sel:WORD_0 src1_sel:DWORD
	ds_write_b128 v4, v[0:3] offset:16
	v_and_b32_e32 v0, 3, v38
	v_or_b32_e32 v1, v4, v0
	v_xor_b32_e32 v0, 2, v0
	v_or_b32_e32 v18, v4, v0
	v_add_u32_e32 v0, 3, v0
	v_add_u32_e32 v10, -1, v38
	v_and_or_b32 v34, v0, 3, v4
	v_or_b32_e32 v0, v0, v4
	v_and_or_b32 v10, v10, 3, v4
	v_or_b32_e32 v4, 4, v0
	v_or_b32_e32 v35, 12, v0
	;; [unrolled: 1-line block ×4, first 2 shown]
	ds_read_u8 v2, v1
	ds_read_u8 v3, v1 offset:4
	ds_read_u8 v5, v1 offset:8
	ds_read_u8 v6, v1 offset:12
	ds_read_u8 v7, v1 offset:16
	ds_read_u8 v8, v1 offset:20
	ds_read_u8 v9, v1 offset:24
	ds_read_u8 v1, v1 offset:28
	ds_read_u8 v11, v10
	ds_read_u8 v12, v10 offset:4
	ds_read_u8 v13, v10 offset:8
	ds_read_u8 v14, v10 offset:12
	ds_read_u8 v15, v10 offset:16
	ds_read_u8 v16, v10 offset:20
	ds_read_u8 v17, v10 offset:24
	ds_read_u8 v10, v10 offset:28
	;; [unrolled: 8-line block ×3, first 2 shown]
	ds_read_u8 v48, v34
	ds_read_u8 v49, v34 offset:8
	ds_read_u8 v50, v34 offset:16
	ds_read_u8 v35, v35
	ds_read_u8 v47, v47
	;; [unrolled: 1-line block ×4, first 2 shown]
	ds_read_u8 v34, v34 offset:24
	v_and_b32_e32 v59, 64, v38
	s_waitcnt lgkmcnt(3)
	v_mov_b32_dpp v57, v47 quad_perm:[3,0,1,2] row_mask:0xf bank_mask:0xf
	s_waitcnt lgkmcnt(2)
	v_mov_b32_dpp v58, v0 quad_perm:[3,0,1,2] row_mask:0xf bank_mask:0xf
	v_add_u32_e32 v0, 60, v38
	v_and_or_b32 v0, v0, 63, v59
	v_lshlrev_b32_e32 v47, 2, v0
	ds_bpermute_b32 v0, v47, v3
	v_add_u32_e32 v3, 56, v38
	v_and_or_b32 v3, v3, 63, v59
	v_mov_b32_dpp v56, v35 quad_perm:[3,0,1,2] row_mask:0xf bank_mask:0xf
	v_lshlrev_b32_e32 v35, 2, v3
	ds_bpermute_b32 v3, v35, v5
	v_add_u32_e32 v5, 52, v38
	v_and_or_b32 v5, v5, 63, v59
	v_mov_b32_dpp v55, v33 quad_perm:[2,3,0,1] row_mask:0xf bank_mask:0xf
	;; [unrolled: 5-line block ×5, first 2 shown]
	v_lshlrev_b32_e32 v19, 2, v8
	ds_bpermute_b32 v8, v19, v9
	v_add_u32_e32 v9, 36, v38
	v_mov_b32_dpp v11, v11 quad_perm:[1,2,3,0] row_mask:0xf bank_mask:0xf
	v_and_or_b32 v9, v9, 63, v59
	v_mov_b32_dpp v51, v17 quad_perm:[1,2,3,0] row_mask:0xf bank_mask:0xf
	v_lshlrev_b32_e32 v17, 2, v9
	v_and_b32_e32 v9, 0xff, v11
	v_lshlrev_b32_e32 v11, 2, v38
	v_xor_b32_e32 v60, 0x80, v11
	ds_bpermute_b32 v1, v17, v1
	ds_bpermute_b32 v9, v60, v9
	s_waitcnt lgkmcnt(6)
	v_lshlrev_b16_e32 v3, 8, v3
	s_waitcnt lgkmcnt(2)
	v_lshlrev_b16_e32 v8, 8, v8
	v_lshlrev_b16_e32 v6, 8, v6
	v_lshrrev_b32_e32 v3, 8, v3
	v_lshlrev_b16_e32 v5, 8, v5
	v_lshlrev_b16_e32 v0, 8, v0
	v_lshrrev_b32_e32 v8, 8, v8
	s_waitcnt lgkmcnt(0)
	v_lshlrev_b16_e32 v9, 8, v9
	v_lshrrev_b32_e32 v6, 8, v6
	v_lshlrev_b16_e32 v7, 8, v7
	v_lshlrev_b16_e32 v1, 8, v1
	v_or_b32_sdwa v3, v3, v5 dst_sel:WORD_1 dst_unused:UNUSED_PAD src0_sel:DWORD src1_sel:DWORD
	v_or_b32_e32 v0, v2, v0
	v_lshrrev_b32_e32 v9, 8, v9
	v_or_b32_sdwa v6, v6, v7 dst_sel:DWORD dst_unused:UNUSED_PAD src0_sel:BYTE_0 src1_sel:DWORD
	v_or_b32_sdwa v1, v8, v1 dst_sel:WORD_1 dst_unused:UNUSED_PAD src0_sel:DWORD src1_sel:DWORD
	v_or_b32_sdwa v0, v0, v3 dst_sel:DWORD dst_unused:UNUSED_PAD src0_sel:WORD_0 src1_sel:DWORD
	v_or_b32_sdwa v1, v6, v1 dst_sel:DWORD dst_unused:UNUSED_PAD src0_sel:WORD_0 src1_sel:DWORD
	scratch_store_byte off, v9, off offset:8
	scratch_store_dwordx2 off, v[0:1], off
	v_add_u32_e32 v0, 28, v38
	v_mov_b32_dpp v12, v12 quad_perm:[1,2,3,0] row_mask:0xf bank_mask:0xf
	v_and_or_b32 v0, v0, 63, v59
	v_and_b32_e32 v1, 0xff, v12
	v_lshlrev_b32_e32 v61, 2, v0
	ds_bpermute_b32 v0, v61, v1
	v_add_u32_e32 v1, 24, v38
	v_mov_b32_dpp v13, v13 quad_perm:[1,2,3,0] row_mask:0xf bank_mask:0xf
	v_and_or_b32 v1, v1, 63, v59
	v_and_b32_e32 v2, 0xff, v13
	v_lshlrev_b32_e32 v11, 2, v1
	ds_bpermute_b32 v1, v11, v2
	;; [unrolled: 6-line block ×3, first 2 shown]
	v_add_u32_e32 v3, 16, v38
	v_mov_b32_dpp v15, v15 quad_perm:[1,2,3,0] row_mask:0xf bank_mask:0xf
	v_and_or_b32 v3, v3, 63, v59
	v_and_b32_e32 v5, 0xff, v15
	v_lshlrev_b32_e32 v7, 2, v3
	v_add_u32_e32 v8, 8, v38
	ds_bpermute_b32 v3, v7, v5
	v_add_u32_e32 v5, 12, v38
	v_and_or_b32 v8, v8, 63, v59
	v_add_u32_e32 v13, 4, v38
	v_mov_b32_dpp v16, v16 quad_perm:[1,2,3,0] row_mask:0xf bank_mask:0xf
	v_mov_b32_dpp v10, v10 quad_perm:[1,2,3,0] row_mask:0xf bank_mask:0xf
	v_and_or_b32 v5, v5, 63, v59
	v_and_b32_e32 v12, 0xff, v51
	v_lshlrev_b32_e32 v8, 2, v8
	v_and_or_b32 v13, v13, 63, v59
	v_and_b32_e32 v6, 0xff, v16
	v_lshlrev_b32_e32 v5, 2, v5
	ds_bpermute_b32 v12, v8, v12
	v_and_b32_e32 v10, 0xff, v10
	v_lshlrev_b32_e32 v13, 2, v13
	ds_bpermute_b32 v6, v5, v6
	ds_bpermute_b32 v10, v13, v10
	s_waitcnt lgkmcnt(5)
	v_lshlrev_b16_e32 v1, 8, v1
	v_or_b32_sdwa v0, v0, v1 dst_sel:DWORD dst_unused:UNUSED_PAD src0_sel:BYTE_0 src1_sel:DWORD
	s_waitcnt lgkmcnt(3)
	v_lshlrev_b16_e32 v1, 8, v3
	v_or_b32_sdwa v1, v2, v1 dst_sel:WORD_1 dst_unused:UNUSED_PAD src0_sel:BYTE_0 src1_sel:DWORD
	v_lshlrev_b16_e32 v2, 8, v52
	v_or_b32_sdwa v0, v0, v1 dst_sel:DWORD dst_unused:UNUSED_PAD src0_sel:WORD_0 src1_sel:DWORD
	s_waitcnt lgkmcnt(2)
	v_lshlrev_b16_e32 v1, 8, v12
	v_mov_b32_dpp v20, v20 quad_perm:[2,3,0,1] row_mask:0xf bank_mask:0xf
	s_waitcnt lgkmcnt(1)
	v_or_b32_sdwa v1, v6, v1 dst_sel:DWORD dst_unused:UNUSED_PAD src0_sel:BYTE_0 src1_sel:DWORD
	s_waitcnt lgkmcnt(0)
	v_or_b32_sdwa v2, v10, v2 dst_sel:WORD_1 dst_unused:UNUSED_PAD src0_sel:BYTE_0 src1_sel:DWORD
	v_and_b32_e32 v3, 0xff, v53
	v_mov_b32_dpp v22, v22 quad_perm:[2,3,0,1] row_mask:0xf bank_mask:0xf
	v_or_b32_sdwa v1, v1, v2 dst_sel:DWORD dst_unused:UNUSED_PAD src0_sel:WORD_0 src1_sel:DWORD
	v_and_b32_e32 v2, 0xff, v20
	ds_bpermute_b32 v3, v35, v3
	v_and_b32_e32 v10, 0xff, v54
	v_mov_b32_dpp v48, v48 quad_perm:[3,0,1,2] row_mask:0xf bank_mask:0xf
	ds_bpermute_b32 v2, v47, v2
	v_and_b32_e32 v6, 0xff, v22
	ds_bpermute_b32 v10, v23, v10
	v_mov_b32_dpp v32, v32 quad_perm:[2,3,0,1] row_mask:0xf bank_mask:0xf
	v_mov_b32_dpp v18, v18 quad_perm:[2,3,0,1] row_mask:0xf bank_mask:0xf
	ds_bpermute_b32 v6, v33, v6
	v_and_b32_e32 v14, 0xff, v55
	v_and_b32_e32 v16, 0xff, v48
	;; [unrolled: 1-line block ×3, first 2 shown]
	ds_bpermute_b32 v14, v19, v14
	v_and_b32_e32 v15, 0xff, v18
	ds_bpermute_b32 v16, v60, v16
	ds_bpermute_b32 v12, v21, v12
	;; [unrolled: 1-line block ×3, first 2 shown]
	s_waitcnt lgkmcnt(7)
	v_lshlrev_b16_e32 v3, 8, v3
	s_waitcnt lgkmcnt(6)
	v_or_b32_sdwa v2, v2, v3 dst_sel:DWORD dst_unused:UNUSED_PAD src0_sel:BYTE_0 src1_sel:DWORD
	s_waitcnt lgkmcnt(5)
	v_lshlrev_b16_e32 v3, 8, v10
	s_waitcnt lgkmcnt(4)
	v_or_b32_sdwa v3, v6, v3 dst_sel:WORD_1 dst_unused:UNUSED_PAD src0_sel:BYTE_0 src1_sel:DWORD
	s_waitcnt lgkmcnt(2)
	v_lshlrev_b16_e32 v6, 8, v16
	v_or_b32_sdwa v2, v2, v3 dst_sel:DWORD dst_unused:UNUSED_PAD src0_sel:WORD_0 src1_sel:DWORD
	v_lshlrev_b16_e32 v3, 8, v14
	s_waitcnt lgkmcnt(1)
	v_or_b32_sdwa v3, v12, v3 dst_sel:DWORD dst_unused:UNUSED_PAD src0_sel:BYTE_0 src1_sel:DWORD
	s_waitcnt lgkmcnt(0)
	v_or_b32_sdwa v6, v15, v6 dst_sel:WORD_1 dst_unused:UNUSED_PAD src0_sel:BYTE_0 src1_sel:DWORD
	v_mov_b32_dpp v49, v49 quad_perm:[3,0,1,2] row_mask:0xf bank_mask:0xf
	v_or_b32_sdwa v3, v3, v6 dst_sel:DWORD dst_unused:UNUSED_PAD src0_sel:WORD_0 src1_sel:DWORD
	v_mov_b32_dpp v4, v4 quad_perm:[3,0,1,2] row_mask:0xf bank_mask:0xf
	v_mov_b32_dpp v50, v50 quad_perm:[3,0,1,2] row_mask:0xf bank_mask:0xf
	scratch_store_dwordx4 off, v[0:3], off offset:9
	v_mov_b32_dpp v34, v34 quad_perm:[3,0,1,2] row_mask:0xf bank_mask:0xf
	v_and_b32_e32 v6, 0xff, v58
	v_and_b32_e32 v1, 0xff, v49
	;; [unrolled: 1-line block ×3, first 2 shown]
	ds_bpermute_b32 v1, v11, v1
	v_and_b32_e32 v2, 0xff, v50
	ds_bpermute_b32 v0, v61, v0
	ds_bpermute_b32 v2, v7, v2
	v_and_b32_e32 v3, 0xff, v56
	ds_bpermute_b32 v3, v9, v3
	s_waitcnt lgkmcnt(3)
	v_lshlrev_b16_e32 v1, 8, v1
	v_and_b32_e32 v4, 0xff, v34
	s_waitcnt lgkmcnt(2)
	v_or_b32_sdwa v0, v0, v1 dst_sel:DWORD dst_unused:UNUSED_PAD src0_sel:BYTE_0 src1_sel:DWORD
	s_waitcnt lgkmcnt(1)
	v_lshlrev_b16_e32 v1, 8, v2
	v_and_b32_e32 v2, 0xff, v57
	ds_bpermute_b32 v4, v8, v4
	ds_bpermute_b32 v2, v5, v2
	;; [unrolled: 1-line block ×3, first 2 shown]
	s_waitcnt lgkmcnt(3)
	v_or_b32_sdwa v1, v3, v1 dst_sel:WORD_1 dst_unused:UNUSED_PAD src0_sel:BYTE_0 src1_sel:DWORD
	v_mov_b32_e32 v18, 0
	v_or_b32_sdwa v0, v0, v1 dst_sel:DWORD dst_unused:UNUSED_PAD src0_sel:WORD_0 src1_sel:DWORD
	s_waitcnt lgkmcnt(2)
	v_lshlrev_b16_e32 v1, 8, v4
	s_waitcnt lgkmcnt(1)
	v_or_b32_sdwa v1, v2, v1 dst_sel:DWORD dst_unused:UNUSED_PAD src0_sel:BYTE_0 src1_sel:DWORD
	s_waitcnt lgkmcnt(0)
	scratch_store_byte off, v6, off offset:31
	scratch_store_short off, v1, off offset:29
	scratch_store_dword off, v0, off offset:25
	v_lshrrev_b32_e32 v0, 2, v38
	v_add_u32_e32 v1, -1, v0
	v_and_or_b32 v1, v1, 15, v18
	scratch_load_ubyte v2, v1, off
	scratch_load_ubyte v3, v1, off offset:16
	v_add_u32_e32 v1, 14, v0
	v_and_or_b32 v1, v1, 15, v18
	v_add_u32_e32 v4, 13, v0
	v_and_or_b32 v4, v4, 15, v18
	scratch_load_ubyte v6, v1, off
	scratch_load_ubyte v10, v1, off offset:16
	scratch_load_ubyte v12, v4, off
	scratch_load_ubyte v14, v4, off offset:16
	v_add_u32_e32 v1, 12, v0
	v_add_u32_e32 v15, 10, v0
	v_and_or_b32 v1, v1, 15, v18
	v_add_u32_e32 v4, 11, v0
	v_and_or_b32 v15, v15, 15, v18
	;; [unrolled: 2-line block ×3, first 2 shown]
	scratch_load_ubyte v16, v1, off
	scratch_load_ubyte v22, v1, off offset:16
	scratch_load_ubyte v32, v4, off
	scratch_load_ubyte v34, v4, off offset:16
	v_and_or_b32 v0, v0, 15, v18
	scratch_load_ubyte v48, v15, off
	scratch_load_ubyte v49, v15, off offset:16
	scratch_load_ubyte v50, v0, off
	scratch_load_ubyte v51, v0, off offset:16
	v_bfe_u32 v20, v38, 2, 4
	v_xor_b32_e32 v52, 8, v20
	v_or_b32_e32 v0, 0, v52
	v_add_u32_e32 v1, 15, v52
	v_and_or_b32 v4, v1, 15, v18
	v_or_b32_e32 v1, 16, v1
	scratch_load_ubyte v15, v0, off
	scratch_load_ubyte v53, v0, off offset:16
	scratch_load_ubyte v54, v4, off
                                        ; kill: killed $vgpr0
                                        ; kill: killed $vgpr4
	scratch_load_ubyte v55, v1, off
	v_or_b32_e32 v20, 0, v20
	s_waitcnt vmcnt(17)
	ds_bpermute_b32 v0, v13, v2
	v_add_u32_e32 v2, 14, v52
	s_waitcnt vmcnt(16)
	ds_bpermute_b32 v1, v13, v3
	v_and_or_b32 v3, v2, 15, v18
	v_or_b32_e32 v4, 16, v2
	s_waitcnt vmcnt(15)
	ds_bpermute_b32 v2, v8, v6
	v_add_u32_e32 v6, 13, v52
	scratch_load_ubyte v56, v3, off
	s_waitcnt vmcnt(15)
	ds_bpermute_b32 v3, v8, v10
	v_and_or_b32 v8, v6, 15, v18
	v_or_b32_e32 v6, 16, v6
	v_add_u32_e32 v10, 12, v52
	scratch_load_ubyte v57, v4, off
	scratch_load_ubyte v58, v8, off
	;; [unrolled: 1-line block ×3, first 2 shown]
	s_waitcnt vmcnt(17)
	ds_bpermute_b32 v4, v5, v12
	s_waitcnt vmcnt(15)
	ds_bpermute_b32 v6, v7, v16
	;; [unrolled: 2-line block ×4, first 2 shown]
	v_and_or_b32 v22, v10, 15, v18
	v_or_b32_e32 v32, 16, v10
	s_waitcnt vmcnt(11)
	ds_bpermute_b32 v10, v11, v48
	v_add_u32_e32 v12, 11, v52
	s_waitcnt vmcnt(10)
	ds_bpermute_b32 v11, v11, v49
	s_waitcnt vmcnt(8)
	ds_bpermute_b32 v13, v61, v51
	v_add_u32_e32 v49, 10, v52
	v_add_u32_e32 v51, 9, v52
	ds_bpermute_b32 v9, v9, v34
	v_and_or_b32 v34, v12, 15, v18
	v_or_b32_e32 v48, 16, v12
	ds_bpermute_b32 v12, v61, v50
	v_and_or_b32 v50, v49, 15, v18
	v_or_b32_e32 v49, 16, v49
	v_and_or_b32 v18, v51, 15, v18
	v_or_b32_e32 v51, 16, v51
	ds_bpermute_b32 v5, v5, v14
	s_waitcnt vmcnt(7)
	ds_bpermute_b32 v14, v60, v15
	s_waitcnt vmcnt(6)
	ds_bpermute_b32 v15, v60, v53
	s_waitcnt vmcnt(5)
	ds_bpermute_b32 v16, v17, v54
	scratch_load_ubyte v22, v22, off
	s_nop 0
	scratch_load_ubyte v32, v32, off
	s_nop 0
	;; [unrolled: 2-line block ×5, first 2 shown]
	scratch_load_ubyte v53, v49, off
	scratch_load_ubyte v54, v18, off
	s_nop 0
	scratch_load_ubyte v51, v51, off
	s_nop 0
	scratch_load_ubyte v48, v20, off
	scratch_load_ubyte v49, v20, off offset:16
	s_waitcnt vmcnt(14)
	ds_bpermute_b32 v17, v17, v55
	s_waitcnt vmcnt(13)
	ds_bpermute_b32 v18, v19, v56
	;; [unrolled: 2-line block ×13, first 2 shown]
	s_cbranch_execz .LBB31_3
	s_branch .LBB31_4
.LBB31_2:
                                        ; implicit-def: $vgpr47
                                        ; implicit-def: $vgpr50
                                        ; implicit-def: $vgpr49
                                        ; implicit-def: $vgpr48
                                        ; implicit-def: $vgpr32_vgpr33_vgpr34_vgpr35
                                        ; implicit-def: $vgpr16_vgpr17_vgpr18_vgpr19_vgpr20_vgpr21_vgpr22_vgpr23
                                        ; implicit-def: $vgpr8_vgpr9_vgpr10_vgpr11_vgpr12_vgpr13_vgpr14_vgpr15
                                        ; implicit-def: $vgpr0_vgpr1_vgpr2_vgpr3_vgpr4_vgpr5_vgpr6_vgpr7
.LBB31_3:
	s_movk_i32 s0, 0xff
	s_mov_b32 s1, 0xffff
	s_waitcnt lgkmcnt(14)
	v_and_b32_sdwa v1, v28, s0 dst_sel:DWORD dst_unused:UNUSED_PAD src0_sel:WORD_1 src1_sel:DWORD
	v_and_b32_e32 v3, 0xff, v45
	v_and_b32_sdwa v5, s1, v29 dst_sel:DWORD dst_unused:UNUSED_PAD src0_sel:DWORD src1_sel:BYTE_3
	v_and_b32_sdwa v4, v29, s0 dst_sel:DWORD dst_unused:UNUSED_PAD src0_sel:WORD_1 src1_sel:DWORD
	s_waitcnt lgkmcnt(5)
	v_mov_b32_dpp v32, v1 quad_perm:[2,3,0,1] row_mask:0xf bank_mask:0xf
	v_mov_b32_dpp v1, v3 quad_perm:[3,0,1,2] row_mask:0xf bank_mask:0xf
	;; [unrolled: 1-line block ×3, first 2 shown]
	v_and_b32_e32 v0, 0xff, v46
	v_and_b32_sdwa v2, s1, v28 dst_sel:DWORD dst_unused:UNUSED_PAD src0_sel:DWORD src1_sel:BYTE_3
	v_and_b32_e32 v6, 0xff, v44
	v_and_b32_sdwa v7, v30, s0 dst_sel:DWORD dst_unused:UNUSED_PAD src0_sel:WORD_1 src1_sel:DWORD
	v_and_b32_sdwa v8, s1, v30 dst_sel:DWORD dst_unused:UNUSED_PAD src0_sel:DWORD src1_sel:BYTE_3
	v_and_b32_e32 v9, 0xff, v43
	v_and_b32_sdwa v11, s1, v31 dst_sel:DWORD dst_unused:UNUSED_PAD src0_sel:DWORD src1_sel:BYTE_3
	v_mov_b32_dpp v4, v4 quad_perm:[2,3,0,1] row_mask:0xf bank_mask:0xf
	v_lshlrev_b16_e32 v1, 8, v1
	v_lshlrev_b16_e32 v5, 8, v5
	v_and_b32_sdwa v10, v31, s0 dst_sel:DWORD dst_unused:UNUSED_PAD src0_sel:WORD_1 src1_sel:DWORD
	v_mov_b32_dpp v0, v0 quad_perm:[3,0,1,2] row_mask:0xf bank_mask:0xf
	s_waitcnt lgkmcnt(4)
	v_mov_b32_dpp v33, v2 quad_perm:[1,2,3,0] row_mask:0xf bank_mask:0xf
	v_mov_b32_dpp v2, v6 quad_perm:[3,0,1,2] row_mask:0xf bank_mask:0xf
	;; [unrolled: 1-line block ×6, first 2 shown]
	v_or_b32_sdwa v1, v29, v1 dst_sel:DWORD dst_unused:UNUSED_PAD src0_sel:BYTE_0 src1_sel:DWORD
	v_or_b32_sdwa v4, v4, v5 dst_sel:WORD_1 dst_unused:UNUSED_PAD src0_sel:BYTE_0 src1_sel:DWORD
	v_mov_b32_dpp v8, v10 quad_perm:[2,3,0,1] row_mask:0xf bank_mask:0xf
	v_lshlrev_b16_e32 v3, 8, v3
	v_lshlrev_b16_e32 v9, 8, v9
	;; [unrolled: 1-line block ×4, first 2 shown]
	v_or_b32_sdwa v1, v1, v4 dst_sel:DWORD dst_unused:UNUSED_PAD src0_sel:WORD_0 src1_sel:DWORD
	v_lshlrev_b16_e32 v0, 8, v0
	v_lshlrev_b16_e32 v4, 8, v33
	v_or_b32_sdwa v3, v31, v3 dst_sel:DWORD dst_unused:UNUSED_PAD src0_sel:BYTE_0 src1_sel:DWORD
	v_or_b32_sdwa v8, v8, v9 dst_sel:WORD_1 dst_unused:UNUSED_PAD src0_sel:BYTE_0 src1_sel:DWORD
	v_or_b32_sdwa v2, v30, v2 dst_sel:DWORD dst_unused:UNUSED_PAD src0_sel:BYTE_0 src1_sel:DWORD
	v_or_b32_sdwa v6, v6, v7 dst_sel:WORD_1 dst_unused:UNUSED_PAD src0_sel:BYTE_0 src1_sel:DWORD
	;; [unrolled: 2-line block ×3, first 2 shown]
	v_and_b32_e32 v12, 0xff, v42
	v_and_b32_sdwa v14, s1, v24 dst_sel:DWORD dst_unused:UNUSED_PAD src0_sel:DWORD src1_sel:BYTE_3
	v_and_b32_e32 v15, 0xff, v41
	v_and_b32_sdwa v17, s1, v25 dst_sel:DWORD dst_unused:UNUSED_PAD src0_sel:DWORD src1_sel:BYTE_3
	;; [unrolled: 2-line block ×4, first 2 shown]
	v_or_b32_sdwa v3, v3, v8 dst_sel:DWORD dst_unused:UNUSED_PAD src0_sel:WORD_0 src1_sel:DWORD
	v_or_b32_sdwa v2, v2, v6 dst_sel:DWORD dst_unused:UNUSED_PAD src0_sel:WORD_0 src1_sel:DWORD
	;; [unrolled: 1-line block ×3, first 2 shown]
	v_and_b32_sdwa v13, v24, s0 dst_sel:DWORD dst_unused:UNUSED_PAD src0_sel:WORD_1 src1_sel:DWORD
	v_and_b32_sdwa v16, v25, s0 dst_sel:DWORD dst_unused:UNUSED_PAD src0_sel:WORD_1 src1_sel:DWORD
	;; [unrolled: 1-line block ×4, first 2 shown]
	scratch_store_dwordx4 off, v[0:3], off
	v_mov_b32_dpp v5, v14 quad_perm:[1,2,3,0] row_mask:0xf bank_mask:0xf
	v_mov_b32_dpp v7, v17 quad_perm:[1,2,3,0] row_mask:0xf bank_mask:0xf
	;; [unrolled: 1-line block ×12, first 2 shown]
	v_lshlrev_b16_e32 v3, 8, v3
	v_lshlrev_b16_e32 v11, 8, v11
	;; [unrolled: 1-line block ×8, first 2 shown]
	v_or_b32_sdwa v3, v27, v3 dst_sel:DWORD dst_unused:UNUSED_PAD src0_sel:BYTE_0 src1_sel:DWORD
	v_or_b32_sdwa v10, v10, v11 dst_sel:WORD_1 dst_unused:UNUSED_PAD src0_sel:BYTE_0 src1_sel:DWORD
	v_or_b32_sdwa v2, v26, v2 dst_sel:DWORD dst_unused:UNUSED_PAD src0_sel:BYTE_0 src1_sel:DWORD
	v_or_b32_sdwa v8, v8, v9 dst_sel:WORD_1 dst_unused:UNUSED_PAD src0_sel:BYTE_0 src1_sel:DWORD
	;; [unrolled: 2-line block ×4, first 2 shown]
	v_or_b32_sdwa v3, v3, v10 dst_sel:DWORD dst_unused:UNUSED_PAD src0_sel:WORD_0 src1_sel:DWORD
	v_or_b32_sdwa v2, v2, v8 dst_sel:DWORD dst_unused:UNUSED_PAD src0_sel:WORD_0 src1_sel:DWORD
	v_or_b32_sdwa v1, v1, v6 dst_sel:DWORD dst_unused:UNUSED_PAD src0_sel:WORD_0 src1_sel:DWORD
	v_or_b32_sdwa v0, v0, v4 dst_sel:DWORD dst_unused:UNUSED_PAD src0_sel:WORD_0 src1_sel:DWORD
	scratch_store_dwordx4 off, v[0:3], off offset:16
	s_nop 1
	v_mov_b32_e32 v1, 0
	v_add_u32_e32 v2, -1, v38
	v_and_b32_e32 v0, 3, v38
	v_and_or_b32 v2, v2, 3, v1
	scratch_load_ubyte v3, v2, off
	scratch_load_ubyte v4, v2, off offset:4
	scratch_load_ubyte v5, v2, off offset:8
	;; [unrolled: 1-line block ×7, first 2 shown]
	v_xor_b32_e32 v2, 2, v0
	v_or_b32_e32 v11, 0, v2
	v_add_u32_e32 v2, 3, v2
	scratch_load_ubyte v12, v11, off
	scratch_load_ubyte v13, v11, off offset:4
	scratch_load_ubyte v14, v11, off offset:8
	;; [unrolled: 1-line block ×7, first 2 shown]
	v_or_b32_e32 v11, 0, v2
	v_and_or_b32 v1, v2, 3, v1
	v_or_b32_e32 v20, 4, v11
	v_or_b32_e32 v11, 12, v11
	;; [unrolled: 1-line block ×4, first 2 shown]
	scratch_load_ubyte v21, v1, off
	scratch_load_ubyte v22, v1, off offset:8
	scratch_load_ubyte v23, v1, off offset:16
	v_or_b32_e32 v0, 0, v0
	scratch_load_ubyte v20, v20, off
	s_nop 0
	scratch_load_ubyte v11, v11, off
	s_nop 0
	;; [unrolled: 2-line block ×4, first 2 shown]
	scratch_load_ubyte v1, v1, off offset:24
	s_nop 0
	scratch_load_ubyte v25, v0, off offset:4
	scratch_load_ubyte v26, v0, off offset:8
	;; [unrolled: 1-line block ×7, first 2 shown]
	scratch_load_ubyte v32, v0, off
	s_waitcnt vmcnt(31)
	v_mov_b32_dpp v0, v3 quad_perm:[1,2,3,0] row_mask:0xf bank_mask:0xf
	s_waitcnt vmcnt(30)
	v_mov_b32_dpp v3, v4 quad_perm:[1,2,3,0] row_mask:0xf bank_mask:0xf
	;; [unrolled: 2-line block ×12, first 2 shown]
	v_add_u32_e32 v15, 52, v38
	s_waitcnt vmcnt(16) lgkmcnt(3)
	v_mov_b32_dpp v34, v19 quad_perm:[2,3,0,1] row_mask:0xf bank_mask:0xf
	v_mov_b32_dpp v33, v17 quad_perm:[2,3,0,1] row_mask:0xf bank_mask:0xf
	v_and_b32_e32 v0, 0xff, v0
	s_waitcnt vmcnt(15) lgkmcnt(2)
	v_mov_b32_dpp v35, v21 quad_perm:[3,0,1,2] row_mask:0xf bank_mask:0xf
	v_add_u32_e32 v17, 36, v38
	s_waitcnt vmcnt(13)
	v_mov_b32_dpp v39, v23 quad_perm:[3,0,1,2] row_mask:0xf bank_mask:0xf
	s_waitcnt vmcnt(10)
	v_mov_b32_dpp v40, v24 quad_perm:[3,0,1,2] row_mask:0xf bank_mask:0xf
	;; [unrolled: 2-line block ×4, first 2 shown]
	v_and_b32_e32 v2, 64, v38
	v_add_u32_e32 v1, 60, v38
	v_and_or_b32 v1, v1, 63, v2
	v_lshlrev_b32_e32 v24, 2, v1
	v_add_u32_e32 v1, 56, v38
	v_and_or_b32 v1, v1, 63, v2
	s_waitcnt vmcnt(7)
	ds_bpermute_b32 v43, v24, v25
	v_lshlrev_b32_e32 v25, 2, v1
	v_and_or_b32 v15, v15, 63, v2
	s_waitcnt vmcnt(6)
	ds_bpermute_b32 v1, v25, v26
	v_lshlrev_b32_e32 v26, 2, v15
	v_add_u32_e32 v15, 48, v38
	v_and_or_b32 v15, v15, 63, v2
	v_lshlrev_b32_e32 v23, 2, v15
	v_add_u32_e32 v15, 44, v38
	v_and_or_b32 v15, v15, 63, v2
	;; [unrolled: 3-line block ×3, first 2 shown]
	v_lshlrev_b32_e32 v19, 2, v15
	v_lshlrev_b32_e32 v15, 2, v38
	v_xor_b32_e32 v15, 0x80, v15
	s_waitcnt vmcnt(4)
	ds_bpermute_b32 v28, v23, v28
	ds_bpermute_b32 v0, v15, v0
	v_and_or_b32 v17, v17, 63, v2
	s_waitcnt vmcnt(3)
	ds_bpermute_b32 v29, v21, v29
	s_waitcnt vmcnt(2)
	ds_bpermute_b32 v30, v19, v30
	v_lshlrev_b32_e32 v17, 2, v17
	s_waitcnt vmcnt(1)
	ds_bpermute_b32 v31, v17, v31
	ds_bpermute_b32 v27, v26, v27
	s_waitcnt lgkmcnt(4)
	v_lshlrev_b16_e32 v0, 8, v0
	v_lshlrev_b16_e32 v28, 8, v28
	v_lshlrev_b16_e32 v1, 8, v1
	s_waitcnt lgkmcnt(2)
	v_lshlrev_b16_e32 v30, 8, v30
	v_lshrrev_b32_e32 v44, 8, v1
	v_lshrrev_b32_e32 v1, 8, v28
	;; [unrolled: 1-line block ×3, first 2 shown]
	v_lshlrev_b16_e32 v0, 8, v29
	v_lshrrev_b32_e32 v30, 8, v30
	v_or_b32_sdwa v0, v1, v0 dst_sel:DWORD dst_unused:UNUSED_PAD src0_sel:BYTE_0 src1_sel:DWORD
	s_waitcnt lgkmcnt(1)
	v_lshlrev_b16_e32 v1, 8, v31
	v_or_b32_sdwa v1, v30, v1 dst_sel:WORD_1 dst_unused:UNUSED_PAD src0_sel:DWORD src1_sel:DWORD
	v_add_u32_e32 v31, 4, v38
	v_or_b32_sdwa v1, v0, v1 dst_sel:DWORD dst_unused:UNUSED_PAD src0_sel:WORD_0 src1_sel:DWORD
	s_waitcnt lgkmcnt(0)
	v_lshlrev_b16_e32 v0, 8, v27
	v_lshlrev_b16_e32 v27, 8, v43
	v_or_b32_sdwa v0, v44, v0 dst_sel:WORD_1 dst_unused:UNUSED_PAD src0_sel:DWORD src1_sel:DWORD
	s_waitcnt vmcnt(0)
	v_or_b32_e32 v27, v32, v27
	v_or_b32_sdwa v0, v27, v0 dst_sel:DWORD dst_unused:UNUSED_PAD src0_sel:WORD_0 src1_sel:DWORD
	scratch_store_byte off, v28, off offset:40
	scratch_store_dwordx2 off, v[0:1], off offset:32
	v_add_u32_e32 v0, 28, v38
	v_and_or_b32 v0, v0, 63, v2
	v_and_b32_e32 v1, 0xff, v3
	v_lshlrev_b32_e32 v27, 2, v0
	ds_bpermute_b32 v0, v27, v1
	v_add_u32_e32 v1, 24, v38
	v_and_or_b32 v1, v1, 63, v2
	v_and_b32_e32 v3, 0xff, v4
	v_lshlrev_b32_e32 v28, 2, v1
	ds_bpermute_b32 v1, v28, v3
	;; [unrolled: 5-line block ×4, first 2 shown]
	v_add_u32_e32 v5, 12, v38
	v_and_b32_e32 v6, 0xff, v7
	v_add_u32_e32 v7, 8, v38
	v_and_or_b32 v5, v5, 63, v2
	v_and_or_b32 v7, v7, 63, v2
	;; [unrolled: 1-line block ×3, first 2 shown]
	v_and_b32_e32 v8, 0xff, v8
	v_lshlrev_b32_e32 v7, 2, v7
	v_and_b32_e32 v9, 0xff, v9
	v_lshlrev_b32_e32 v31, 2, v2
	v_lshlrev_b32_e32 v5, 2, v5
	ds_bpermute_b32 v8, v7, v8
	ds_bpermute_b32 v2, v31, v9
	;; [unrolled: 1-line block ×3, first 2 shown]
	s_waitcnt lgkmcnt(5)
	v_lshlrev_b16_e32 v1, 8, v1
	v_or_b32_sdwa v0, v0, v1 dst_sel:DWORD dst_unused:UNUSED_PAD src0_sel:BYTE_0 src1_sel:DWORD
	s_waitcnt lgkmcnt(3)
	v_lshlrev_b16_e32 v1, 8, v4
	v_or_b32_sdwa v1, v3, v1 dst_sel:WORD_1 dst_unused:UNUSED_PAD src0_sel:BYTE_0 src1_sel:DWORD
	v_lshlrev_b16_e32 v3, 8, v10
	v_mov_b32_dpp v18, v18 quad_perm:[2,3,0,1] row_mask:0xf bank_mask:0xf
	v_or_b32_sdwa v0, v0, v1 dst_sel:DWORD dst_unused:UNUSED_PAD src0_sel:WORD_0 src1_sel:DWORD
	s_waitcnt lgkmcnt(2)
	v_lshlrev_b16_e32 v1, 8, v8
	s_waitcnt lgkmcnt(1)
	v_or_b32_sdwa v2, v2, v3 dst_sel:WORD_1 dst_unused:UNUSED_PAD src0_sel:BYTE_0 src1_sel:DWORD
	v_and_b32_e32 v3, 0xff, v13
	v_mov_b32_dpp v16, v16 quad_perm:[2,3,0,1] row_mask:0xf bank_mask:0xf
	s_waitcnt lgkmcnt(0)
	v_or_b32_sdwa v1, v6, v1 dst_sel:DWORD dst_unused:UNUSED_PAD src0_sel:BYTE_0 src1_sel:DWORD
	ds_bpermute_b32 v4, v25, v3
	v_and_b32_e32 v3, 0xff, v14
	v_and_b32_e32 v9, 0xff, v18
	v_or_b32_sdwa v1, v1, v2 dst_sel:DWORD dst_unused:UNUSED_PAD src0_sel:WORD_0 src1_sel:DWORD
	v_and_b32_e32 v2, 0xff, v12
	ds_bpermute_b32 v6, v26, v3
	v_and_b32_e32 v3, 0xff, v16
	v_and_b32_e32 v8, 0xff, v33
	ds_bpermute_b32 v9, v19, v9
	v_and_b32_e32 v12, 0xff, v35
	ds_bpermute_b32 v2, v24, v2
	ds_bpermute_b32 v8, v21, v8
	v_and_b32_e32 v10, 0xff, v34
	ds_bpermute_b32 v12, v15, v12
	ds_bpermute_b32 v13, v23, v3
	ds_bpermute_b32 v10, v17, v10
	s_waitcnt lgkmcnt(5)
	v_lshlrev_b16_e32 v3, 8, v9
	v_lshlrev_b16_e32 v4, 8, v4
	s_waitcnt lgkmcnt(3)
	v_or_b32_sdwa v3, v8, v3 dst_sel:DWORD dst_unused:UNUSED_PAD src0_sel:BYTE_0 src1_sel:DWORD
	s_waitcnt lgkmcnt(2)
	v_lshlrev_b16_e32 v8, 8, v12
	v_or_b32_sdwa v2, v2, v4 dst_sel:DWORD dst_unused:UNUSED_PAD src0_sel:BYTE_0 src1_sel:DWORD
	s_waitcnt lgkmcnt(1)
	v_lshlrev_b16_e32 v4, 8, v13
	s_waitcnt lgkmcnt(0)
	v_or_b32_sdwa v8, v10, v8 dst_sel:WORD_1 dst_unused:UNUSED_PAD src0_sel:BYTE_0 src1_sel:DWORD
	v_or_b32_sdwa v4, v6, v4 dst_sel:WORD_1 dst_unused:UNUSED_PAD src0_sel:BYTE_0 src1_sel:DWORD
	v_mov_b32_dpp v22, v22 quad_perm:[3,0,1,2] row_mask:0xf bank_mask:0xf
	v_or_b32_sdwa v3, v3, v8 dst_sel:DWORD dst_unused:UNUSED_PAD src0_sel:WORD_0 src1_sel:DWORD
	v_or_b32_sdwa v2, v2, v4 dst_sel:DWORD dst_unused:UNUSED_PAD src0_sel:WORD_0 src1_sel:DWORD
	v_mov_b32_dpp v20, v20 quad_perm:[3,0,1,2] row_mask:0xf bank_mask:0xf
	scratch_store_dwordx4 off, v[0:3], off offset:41
	v_mov_b32_dpp v11, v11 quad_perm:[3,0,1,2] row_mask:0xf bank_mask:0xf
	v_and_b32_e32 v4, 0xff, v41
	v_and_b32_e32 v1, 0xff, v22
	;; [unrolled: 1-line block ×3, first 2 shown]
	ds_bpermute_b32 v1, v28, v1
	v_and_b32_e32 v2, 0xff, v39
	ds_bpermute_b32 v0, v27, v0
	ds_bpermute_b32 v2, v30, v2
	v_and_b32_e32 v3, 0xff, v11
	ds_bpermute_b32 v3, v29, v3
	s_waitcnt lgkmcnt(3)
	v_lshlrev_b16_e32 v1, 8, v1
	s_waitcnt lgkmcnt(2)
	v_or_b32_sdwa v0, v0, v1 dst_sel:DWORD dst_unused:UNUSED_PAD src0_sel:BYTE_0 src1_sel:DWORD
	s_waitcnt lgkmcnt(1)
	v_lshlrev_b16_e32 v1, 8, v2
	v_and_b32_e32 v2, 0xff, v40
	ds_bpermute_b32 v4, v7, v4
	v_and_b32_e32 v6, 0xff, v42
	ds_bpermute_b32 v2, v5, v2
	ds_bpermute_b32 v6, v31, v6
	s_waitcnt lgkmcnt(3)
	v_or_b32_sdwa v1, v3, v1 dst_sel:WORD_1 dst_unused:UNUSED_PAD src0_sel:BYTE_0 src1_sel:DWORD
	s_nop 0
	v_or_b32_sdwa v0, v0, v1 dst_sel:DWORD dst_unused:UNUSED_PAD src0_sel:WORD_0 src1_sel:DWORD
	s_waitcnt lgkmcnt(2)
	v_lshlrev_b16_e32 v1, 8, v4
	s_waitcnt lgkmcnt(1)
	v_or_b32_sdwa v1, v2, v1 dst_sel:DWORD dst_unused:UNUSED_PAD src0_sel:BYTE_0 src1_sel:DWORD
	s_waitcnt lgkmcnt(0)
	scratch_store_byte off, v6, off offset:63
	scratch_store_short off, v1, off offset:61
	scratch_store_dword off, v0, off offset:57
	v_lshrrev_b32_e32 v0, 2, v38
	v_mov_b32_e32 v2, 32
	v_add_u32_e32 v3, -1, v0
	v_add_u32_e32 v4, 14, v0
	v_add_u32_e32 v6, 13, v0
	v_and_or_b32 v3, v3, 15, v2
	v_and_or_b32 v4, v4, 15, v2
	;; [unrolled: 1-line block ×3, first 2 shown]
	scratch_load_ubyte v8, v3, off
	scratch_load_ubyte v9, v3, off offset:16
	scratch_load_ubyte v10, v4, off
	scratch_load_ubyte v11, v4, off offset:16
	;; [unrolled: 2-line block ×3, first 2 shown]
	v_add_u32_e32 v3, 12, v0
	v_add_u32_e32 v4, 11, v0
	v_add_u32_e32 v6, 10, v0
	v_add_u32_e32 v0, 9, v0
	v_bfe_u32 v1, v38, 2, 4
	v_and_or_b32 v3, v3, 15, v2
	v_and_or_b32 v0, v0, 15, v2
	;; [unrolled: 1-line block ×4, first 2 shown]
	scratch_load_ubyte v14, v3, off
	scratch_load_ubyte v16, v3, off offset:16
	scratch_load_ubyte v18, v4, off
	scratch_load_ubyte v20, v4, off offset:16
	;; [unrolled: 2-line block ×4, first 2 shown]
	v_xor_b32_e32 v0, 8, v1
	v_add_u32_e32 v4, 15, v0
	v_add_u32_e32 v35, 14, v0
	;; [unrolled: 1-line block ×3, first 2 shown]
	v_or_b32_e32 v3, 32, v0
	v_and_or_b32 v6, v4, 15, v2
	v_and_or_b32 v38, v35, 15, v2
	v_or_b32_e32 v35, 16, v35
	v_and_or_b32 v40, v39, 15, v2
	v_or_b32_e32 v39, 16, v39
	v_or_b32_e32 v4, 16, v4
	scratch_load_ubyte v41, v3, off
	scratch_load_ubyte v42, v3, off offset:16
	scratch_load_ubyte v43, v6, off
                                        ; kill: killed $vgpr6
                                        ; kill: killed $vgpr3
	scratch_load_ubyte v44, v4, off offset:32
	s_nop 0
	scratch_load_ubyte v38, v38, off
	s_nop 0
	scratch_load_ubyte v35, v35, off offset:32
	s_nop 0
	scratch_load_ubyte v40, v40, off
	s_nop 0
	scratch_load_ubyte v39, v39, off offset:32
	v_add_u32_e32 v3, 12, v0
	v_add_u32_e32 v6, 11, v0
	;; [unrolled: 1-line block ×3, first 2 shown]
	v_and_or_b32 v4, v3, 15, v2
	v_and_or_b32 v45, v6, 15, v2
	;; [unrolled: 1-line block ×3, first 2 shown]
	v_or_b32_e32 v46, 16, v46
	v_add_u32_e32 v0, 9, v0
	v_or_b32_e32 v3, 16, v3
	v_or_b32_e32 v6, 16, v6
	v_and_or_b32 v2, v0, 15, v2
	v_or_b32_e32 v0, 16, v0
	scratch_load_ubyte v50, v4, off
	scratch_load_ubyte v51, v3, off offset:32
	s_nop 0
	scratch_load_ubyte v45, v45, off
	s_nop 0
	scratch_load_ubyte v52, v6, off offset:32
	s_nop 0
	scratch_load_ubyte v47, v47, off
	s_nop 0
	scratch_load_ubyte v46, v46, off offset:32
	s_nop 0
	scratch_load_ubyte v53, v2, off
	scratch_load_ubyte v54, v0, off offset:32
	v_or_b32_e32 v0, 32, v1
	scratch_load_ubyte v48, v0, off
	scratch_load_ubyte v49, v0, off offset:16
	s_waitcnt vmcnt(31)
	ds_bpermute_b32 v0, v31, v8
	s_waitcnt vmcnt(30)
	ds_bpermute_b32 v1, v31, v9
	;; [unrolled: 2-line block ×30, first 2 shown]
.LBB31_4:
	s_waitcnt lgkmcnt(14)
	v_lshlrev_b16_e32 v9, 8, v9
	v_or_b32_sdwa v8, v8, v9 dst_sel:DWORD dst_unused:UNUSED_PAD src0_sel:BYTE_0 src1_sel:DWORD
	v_lshlrev_b16_e32 v9, 8, v11
	v_or_b32_sdwa v9, v10, v9 dst_sel:WORD_1 dst_unused:UNUSED_PAD src0_sel:BYTE_0 src1_sel:DWORD
	v_mov_b32_e32 v10, 8
	v_lshlrev_b16_e32 v5, 8, v5
	v_lshlrev_b16_e32 v3, 8, v3
	;; [unrolled: 1-line block ×3, first 2 shown]
	v_lshrrev_b32_sdwa v5, v10, v5 dst_sel:BYTE_1 dst_unused:UNUSED_PAD src0_sel:DWORD src1_sel:DWORD
	v_lshrrev_b32_sdwa v11, v10, v1 dst_sel:BYTE_1 dst_unused:UNUSED_PAD src0_sel:DWORD src1_sel:DWORD
	;; [unrolled: 1-line block ×3, first 2 shown]
	s_waitcnt lgkmcnt(8)
	v_lshlrev_b16_e32 v21, 8, v21
	v_or_b32_sdwa v1, v2, v1 dst_sel:DWORD dst_unused:UNUSED_PAD src0_sel:BYTE_0 src1_sel:DWORD
	v_or_b32_sdwa v2, v4, v5 dst_sel:WORD_1 dst_unused:UNUSED_PAD src0_sel:BYTE_0 src1_sel:DWORD
	v_lshlrev_b16_e32 v17, 8, v17
	v_lshlrev_b16_e32 v13, 8, v13
	;; [unrolled: 1-line block ×3, first 2 shown]
	v_or_b32_sdwa v1, v1, v2 dst_sel:DWORD dst_unused:UNUSED_PAD src0_sel:WORD_0 src1_sel:DWORD
	s_waitcnt vmcnt(0)
	v_lshlrev_b16_e32 v2, 8, v49
	v_or_b32_sdwa v20, v20, v21 dst_sel:DWORD dst_unused:UNUSED_PAD src0_sel:BYTE_0 src1_sel:DWORD
	s_waitcnt lgkmcnt(6)
	v_lshlrev_b16_e32 v21, 8, v23
	v_or_b32_sdwa v16, v16, v17 dst_sel:DWORD dst_unused:UNUSED_PAD src0_sel:BYTE_0 src1_sel:DWORD
	v_lshlrev_b16_e32 v17, 8, v19
	v_or_b32_sdwa v12, v12, v13 dst_sel:DWORD dst_unused:UNUSED_PAD src0_sel:BYTE_0 src1_sel:DWORD
	v_lshlrev_b16_e32 v13, 8, v15
	v_lshrrev_b32_sdwa v7, v10, v7 dst_sel:BYTE_1 dst_unused:UNUSED_PAD src0_sel:DWORD src1_sel:DWORD
	v_or_b32_sdwa v2, v48, v2 dst_sel:DWORD dst_unused:UNUSED_PAD src0_sel:BYTE_0 src1_sel:DWORD
	v_or_b32_sdwa v0, v0, v11 dst_sel:WORD_1 dst_unused:UNUSED_PAD src0_sel:BYTE_0 src1_sel:DWORD
	v_or_b32_sdwa v21, v22, v21 dst_sel:WORD_1 dst_unused:UNUSED_PAD src0_sel:BYTE_0 src1_sel:DWORD
	;; [unrolled: 1-line block ×4, first 2 shown]
	v_or_b32_sdwa v18, v8, v9 dst_sel:DWORD dst_unused:UNUSED_PAD src0_sel:WORD_0 src1_sel:DWORD
	v_lshl_add_u64 v[8:9], s[6:7], 0, v[36:37]
	v_or_b32_sdwa v0, v2, v0 dst_sel:DWORD dst_unused:UNUSED_PAD src0_sel:WORD_0 src1_sel:DWORD
	v_or_b32_sdwa v2, v6, v7 dst_sel:DWORD dst_unused:UNUSED_PAD src0_sel:BYTE_0 src1_sel:DWORD
	s_waitcnt lgkmcnt(4)
	v_lshlrev_b16_e32 v24, 8, v33
	s_waitcnt lgkmcnt(2)
	v_lshlrev_b16_e32 v25, 8, v35
	v_or_b32_sdwa v21, v20, v21 dst_sel:DWORD dst_unused:UNUSED_PAD src0_sel:WORD_0 src1_sel:DWORD
	v_or_b32_sdwa v20, v16, v17 dst_sel:DWORD dst_unused:UNUSED_PAD src0_sel:WORD_0 src1_sel:DWORD
	;; [unrolled: 1-line block ×3, first 2 shown]
	global_store_short v[8:9], v2, off offset:8
	global_store_dwordx2 v[8:9], v[0:1], off
	global_store_dwordx4 v[8:9], v[18:21], off offset:10
	s_waitcnt lgkmcnt(0)
	v_lshlrev_b16_e32 v0, 8, v47
	v_or_b32_sdwa v24, v32, v24 dst_sel:DWORD dst_unused:UNUSED_PAD src0_sel:BYTE_0 src1_sel:DWORD
	v_or_b32_sdwa v25, v34, v25 dst_sel:WORD_1 dst_unused:UNUSED_PAD src0_sel:BYTE_0 src1_sel:DWORD
	v_or_b32_sdwa v0, v50, v0 dst_sel:DWORD dst_unused:UNUSED_PAD src0_sel:BYTE_0 src1_sel:DWORD
	v_or_b32_sdwa v24, v24, v25 dst_sel:DWORD dst_unused:UNUSED_PAD src0_sel:WORD_0 src1_sel:DWORD
	global_store_short v[8:9], v0, off offset:30
	global_store_dword v[8:9], v24, off offset:26
	s_endpgm
	.section	.rodata,"a",@progbits
	.p2align	6, 0x0
	.amdhsa_kernel _Z20warp_exchange_kernelILj32ELj64EN6common25BlockedToStripedShuffleOpEaEvPT2_S3_b
		.amdhsa_group_segment_fixed_size 32768
		.amdhsa_private_segment_fixed_size 80
		.amdhsa_kernarg_size 20
		.amdhsa_user_sgpr_count 4
		.amdhsa_user_sgpr_dispatch_ptr 1
		.amdhsa_user_sgpr_queue_ptr 0
		.amdhsa_user_sgpr_kernarg_segment_ptr 1
		.amdhsa_user_sgpr_dispatch_id 0
		.amdhsa_user_sgpr_kernarg_preload_length 0
		.amdhsa_user_sgpr_kernarg_preload_offset 0
		.amdhsa_user_sgpr_private_segment_size 0
		.amdhsa_uses_dynamic_stack 0
		.amdhsa_enable_private_segment 1
		.amdhsa_system_sgpr_workgroup_id_x 1
		.amdhsa_system_sgpr_workgroup_id_y 0
		.amdhsa_system_sgpr_workgroup_id_z 0
		.amdhsa_system_sgpr_workgroup_info 0
		.amdhsa_system_vgpr_workitem_id 2
		.amdhsa_next_free_vgpr 62
		.amdhsa_next_free_sgpr 9
		.amdhsa_accum_offset 64
		.amdhsa_reserve_vcc 0
		.amdhsa_float_round_mode_32 0
		.amdhsa_float_round_mode_16_64 0
		.amdhsa_float_denorm_mode_32 3
		.amdhsa_float_denorm_mode_16_64 3
		.amdhsa_dx10_clamp 1
		.amdhsa_ieee_mode 1
		.amdhsa_fp16_overflow 0
		.amdhsa_tg_split 0
		.amdhsa_exception_fp_ieee_invalid_op 0
		.amdhsa_exception_fp_denorm_src 0
		.amdhsa_exception_fp_ieee_div_zero 0
		.amdhsa_exception_fp_ieee_overflow 0
		.amdhsa_exception_fp_ieee_underflow 0
		.amdhsa_exception_fp_ieee_inexact 0
		.amdhsa_exception_int_div_zero 0
	.end_amdhsa_kernel
	.section	.text._Z20warp_exchange_kernelILj32ELj64EN6common25BlockedToStripedShuffleOpEaEvPT2_S3_b,"axG",@progbits,_Z20warp_exchange_kernelILj32ELj64EN6common25BlockedToStripedShuffleOpEaEvPT2_S3_b,comdat
.Lfunc_end31:
	.size	_Z20warp_exchange_kernelILj32ELj64EN6common25BlockedToStripedShuffleOpEaEvPT2_S3_b, .Lfunc_end31-_Z20warp_exchange_kernelILj32ELj64EN6common25BlockedToStripedShuffleOpEaEvPT2_S3_b
                                        ; -- End function
	.section	.AMDGPU.csdata,"",@progbits
; Kernel info:
; codeLenInByte = 6908
; NumSgprs: 15
; NumVgprs: 62
; NumAgprs: 0
; TotalNumVgprs: 62
; ScratchSize: 80
; MemoryBound: 0
; FloatMode: 240
; IeeeMode: 1
; LDSByteSize: 32768 bytes/workgroup (compile time only)
; SGPRBlocks: 1
; VGPRBlocks: 7
; NumSGPRsForWavesPerEU: 15
; NumVGPRsForWavesPerEU: 62
; AccumOffset: 64
; Occupancy: 8
; WaveLimiterHint : 0
; COMPUTE_PGM_RSRC2:SCRATCH_EN: 1
; COMPUTE_PGM_RSRC2:USER_SGPR: 4
; COMPUTE_PGM_RSRC2:TRAP_HANDLER: 0
; COMPUTE_PGM_RSRC2:TGID_X_EN: 1
; COMPUTE_PGM_RSRC2:TGID_Y_EN: 0
; COMPUTE_PGM_RSRC2:TGID_Z_EN: 0
; COMPUTE_PGM_RSRC2:TIDIG_COMP_CNT: 2
; COMPUTE_PGM_RSRC3_GFX90A:ACCUM_OFFSET: 15
; COMPUTE_PGM_RSRC3_GFX90A:TG_SPLIT: 0
	.section	.text._Z20warp_exchange_kernelILj8ELj32EN6common25BlockedToStripedShuffleOpEdEvPT2_S3_b,"axG",@progbits,_Z20warp_exchange_kernelILj8ELj32EN6common25BlockedToStripedShuffleOpEdEvPT2_S3_b,comdat
	.protected	_Z20warp_exchange_kernelILj8ELj32EN6common25BlockedToStripedShuffleOpEdEvPT2_S3_b ; -- Begin function _Z20warp_exchange_kernelILj8ELj32EN6common25BlockedToStripedShuffleOpEdEvPT2_S3_b
	.globl	_Z20warp_exchange_kernelILj8ELj32EN6common25BlockedToStripedShuffleOpEdEvPT2_S3_b
	.p2align	8
	.type	_Z20warp_exchange_kernelILj8ELj32EN6common25BlockedToStripedShuffleOpEdEvPT2_S3_b,@function
_Z20warp_exchange_kernelILj8ELj32EN6common25BlockedToStripedShuffleOpEdEvPT2_S3_b: ; @_Z20warp_exchange_kernelILj8ELj32EN6common25BlockedToStripedShuffleOpEdEvPT2_S3_b
; %bb.0:
	s_load_dwordx4 s[20:23], s[0:1], 0x0
	s_load_dword s2, s[0:1], 0x10
	v_lshlrev_b32_e32 v1, 6, v0
	v_lshlrev_b32_e32 v0, 3, v0
	s_waitcnt lgkmcnt(0)
	global_load_dwordx4 v[10:13], v1, s[20:21] offset:48
	global_load_dwordx4 v[2:5], v1, s[20:21] offset:32
	;; [unrolled: 1-line block ×3, first 2 shown]
	global_load_dwordx4 v[6:9], v1, s[20:21]
	v_mbcnt_lo_u32_b32 v1, -1, 0
	s_bitcmp0_b32 s2, 0
	v_mbcnt_hi_u32_b32 v1, -1, v1
	s_cbranch_scc0 .LBB32_2
; %bb.1:
	v_and_b32_e32 v32, 3, v1
	s_waitcnt vmcnt(0)
	v_mov_b32_dpp v19, v8 quad_perm:[3,0,1,2] row_mask:0xf bank_mask:0xf
	v_mov_b32_dpp v21, v9 quad_perm:[3,0,1,2] row_mask:0xf bank_mask:0xf
	v_cmp_eq_u32_e32 vcc, 1, v32
	v_or_b32_e32 v33, 4, v32
	v_mov_b32_dpp v22, v14 quad_perm:[2,3,0,1] row_mask:0xf bank_mask:0xf
	v_mov_b32_dpp v23, v15 quad_perm:[2,3,0,1] row_mask:0xf bank_mask:0xf
	v_cndmask_b32_e32 v18, v6, v19, vcc
	v_cmp_eq_u32_e64 s[0:1], 2, v32
	v_cndmask_b32_e32 v20, v7, v21, vcc
	v_cmp_eq_u32_e32 vcc, 1, v33
	v_mov_b32_dpp v24, v16 quad_perm:[1,2,3,0] row_mask:0xf bank_mask:0xf
	v_mov_b32_dpp v25, v17 quad_perm:[1,2,3,0] row_mask:0xf bank_mask:0xf
	v_cndmask_b32_e64 v18, v18, v22, s[0:1]
	v_cmp_eq_u32_e64 s[2:3], 3, v32
	v_cndmask_b32_e64 v20, v20, v23, s[0:1]
	v_cndmask_b32_e32 v34, v7, v21, vcc
	v_cmp_eq_u32_e64 s[0:1], 2, v33
	v_cndmask_b32_e64 v18, v18, v24, s[2:3]
	v_cmp_eq_u32_e64 s[4:5], 4, v32
	v_cndmask_b32_e64 v20, v20, v25, s[2:3]
	v_cndmask_b32_e64 v34, v34, v23, s[0:1]
	v_cmp_eq_u32_e64 s[2:3], 3, v33
	v_mov_b32_dpp v26, v4 quad_perm:[3,0,1,2] row_mask:0xf bank_mask:0xf
	v_mov_b32_dpp v27, v5 quad_perm:[3,0,1,2] row_mask:0xf bank_mask:0xf
	v_cndmask_b32_e64 v18, v18, v2, s[4:5]
	v_cmp_eq_u32_e64 s[6:7], 5, v32
	v_cndmask_b32_e64 v20, v20, v3, s[4:5]
	v_cndmask_b32_e64 v34, v34, v25, s[2:3]
	v_cmp_eq_u32_e64 s[4:5], 4, v33
	v_mov_b32_dpp v28, v10 quad_perm:[2,3,0,1] row_mask:0xf bank_mask:0xf
	v_mov_b32_dpp v29, v11 quad_perm:[2,3,0,1] row_mask:0xf bank_mask:0xf
	;; [unrolled: 7-line block ×3, first 2 shown]
	v_cndmask_b32_e64 v18, v18, v28, s[8:9]
	v_cmp_eq_u32_e64 s[10:11], 7, v32
	v_cndmask_b32_e64 v20, v20, v29, s[8:9]
	v_cndmask_b32_e64 v34, v34, v27, s[6:7]
	v_cmp_eq_u32_e64 s[8:9], 6, v33
	v_cndmask_b32_e64 v18, v18, v30, s[10:11]
	v_cndmask_b32_e64 v20, v20, v31, s[10:11]
	;; [unrolled: 1-line block ×3, first 2 shown]
	v_cmp_eq_u32_e64 s[10:11], 7, v33
	v_add_u32_e32 v35, -1, v1
	v_and_b32_e32 v35, 3, v35
	v_cndmask_b32_e64 v33, v34, v31, s[10:11]
	v_cndmask_b32_e32 v34, v6, v19, vcc
	v_cndmask_b32_e64 v34, v34, v22, s[0:1]
	v_cndmask_b32_e64 v34, v34, v24, s[2:3]
	;; [unrolled: 1-line block ×6, first 2 shown]
	v_cmp_eq_u32_e32 vcc, 1, v35
	v_cmp_eq_u32_e64 s[0:1], 2, v35
	v_cmp_eq_u32_e64 s[2:3], 3, v35
	;; [unrolled: 1-line block ×6, first 2 shown]
	v_or_b32_e32 v35, 4, v35
	v_cndmask_b32_e32 v36, v7, v21, vcc
	v_cndmask_b32_e32 v37, v6, v19, vcc
	v_cmp_eq_u32_e32 vcc, 1, v35
	v_cndmask_b32_e64 v36, v36, v23, s[0:1]
	v_cndmask_b32_e64 v37, v37, v22, s[0:1]
	v_cndmask_b32_e32 v38, v7, v21, vcc
	v_cmp_eq_u32_e64 s[0:1], 2, v35
	v_cndmask_b32_e64 v36, v36, v25, s[2:3]
	v_cndmask_b32_e64 v37, v37, v24, s[2:3]
	v_cndmask_b32_e64 v38, v38, v23, s[0:1]
	v_cmp_eq_u32_e64 s[2:3], 3, v35
	v_cndmask_b32_e64 v36, v36, v3, s[4:5]
	v_cndmask_b32_e64 v37, v37, v2, s[4:5]
	v_cndmask_b32_e64 v38, v38, v25, s[2:3]
	;; [unrolled: 4-line block ×5, first 2 shown]
	v_cmp_eq_u32_e64 s[10:11], 7, v35
	v_xor_b32_e32 v32, 2, v32
	v_or_b32_e32 v41, 4, v32
	v_cndmask_b32_e64 v35, v38, v31, s[10:11]
	v_cndmask_b32_e32 v38, v6, v19, vcc
	v_cmp_eq_u32_e32 vcc, 1, v32
	v_cndmask_b32_e64 v38, v38, v22, s[0:1]
	v_cmp_eq_u32_e64 s[0:1], 2, v32
	v_cndmask_b32_e32 v39, v7, v21, vcc
	v_cndmask_b32_e32 v40, v6, v19, vcc
	v_cmp_eq_u32_e32 vcc, 1, v41
	v_cndmask_b32_e64 v38, v38, v24, s[2:3]
	v_cndmask_b32_e64 v39, v39, v23, s[0:1]
	v_cmp_eq_u32_e64 s[2:3], 3, v32
	v_cndmask_b32_e64 v40, v40, v22, s[0:1]
	v_cndmask_b32_e32 v42, v7, v21, vcc
	v_cmp_eq_u32_e64 s[0:1], 2, v41
	v_cndmask_b32_e64 v38, v38, v2, s[4:5]
	v_cndmask_b32_e64 v39, v39, v25, s[2:3]
	v_cmp_eq_u32_e64 s[4:5], 4, v32
	v_cndmask_b32_e64 v40, v40, v24, s[2:3]
	v_cndmask_b32_e64 v42, v42, v23, s[0:1]
	;; [unrolled: 3-line block ×8, first 2 shown]
	v_cmp_eq_u32_e64 s[8:9], 6, v41
	v_add_u32_e32 v32, 3, v32
	v_cndmask_b32_e64 v39, v39, v31, s[10:11]
	v_cndmask_b32_e64 v40, v40, v30, s[10:11]
	;; [unrolled: 1-line block ×3, first 2 shown]
	v_cmp_eq_u32_e64 s[10:11], 7, v41
	v_and_b32_e32 v43, 3, v32
	v_or_b32_e32 v32, 4, v32
	v_cndmask_b32_e64 v41, v42, v31, s[10:11]
	v_cndmask_b32_e32 v42, v6, v19, vcc
	v_cmp_eq_u32_e32 vcc, 1, v43
	v_cndmask_b32_e64 v42, v42, v22, s[0:1]
	v_cmp_eq_u32_e64 s[0:1], 2, v43
	v_cndmask_b32_e32 v44, v7, v21, vcc
	v_cndmask_b32_e64 v42, v42, v24, s[2:3]
	v_cndmask_b32_e64 v44, v44, v23, s[0:1]
	v_cmp_eq_u32_e64 s[2:3], 3, v43
	v_cndmask_b32_e64 v42, v42, v2, s[4:5]
	v_cmp_eq_u32_e64 s[4:5], 4, v43
	v_cndmask_b32_e64 v44, v44, v25, s[2:3]
	v_cndmask_b32_e64 v42, v42, v26, s[6:7]
	;; [unrolled: 1-line block ×3, first 2 shown]
	v_cmp_eq_u32_e64 s[6:7], 5, v43
	v_cndmask_b32_e64 v42, v42, v28, s[8:9]
	v_cmp_eq_u32_e64 s[8:9], 6, v43
	v_cndmask_b32_e64 v44, v44, v27, s[6:7]
	v_cndmask_b32_e64 v42, v42, v30, s[10:11]
	;; [unrolled: 1-line block ×3, first 2 shown]
	v_cmp_eq_u32_e64 s[10:11], 7, v43
	s_nop 1
	v_cndmask_b32_e64 v43, v44, v31, s[10:11]
	v_cndmask_b32_e32 v44, v6, v19, vcc
	v_cndmask_b32_e64 v44, v44, v22, s[0:1]
	v_cmp_eq_u32_e32 vcc, 1, v32
	v_cndmask_b32_e64 v44, v44, v24, s[2:3]
	v_cmp_eq_u32_e64 s[0:1], 2, v32
	v_cndmask_b32_e32 v21, v7, v21, vcc
	v_cndmask_b32_e64 v44, v44, v2, s[4:5]
	v_cndmask_b32_e64 v21, v21, v23, s[0:1]
	v_cmp_eq_u32_e64 s[2:3], 3, v32
	v_cndmask_b32_e32 v19, v6, v19, vcc
	v_cndmask_b32_e64 v44, v44, v26, s[6:7]
	v_cndmask_b32_e64 v21, v21, v25, s[2:3]
	v_cmp_eq_u32_e64 s[4:5], 4, v32
	v_cndmask_b32_e64 v19, v19, v22, s[0:1]
	v_cndmask_b32_e64 v44, v44, v28, s[8:9]
	;; [unrolled: 1-line block ×3, first 2 shown]
	v_cmp_eq_u32_e64 s[6:7], 5, v32
	v_cndmask_b32_e64 v19, v19, v24, s[2:3]
	v_cndmask_b32_e64 v44, v44, v30, s[10:11]
	;; [unrolled: 1-line block ×3, first 2 shown]
	v_cmp_eq_u32_e64 s[8:9], 6, v32
	v_cmp_eq_u32_e64 s[10:11], 7, v32
	v_cndmask_b32_e64 v19, v19, v2, s[4:5]
	v_mov_b32_dpp v27, v39 quad_perm:[2,3,0,1] row_mask:0xf bank_mask:0xf
	v_and_b32_e32 v32, 0x60, v1
	v_add_u32_e32 v39, 12, v1
	v_cndmask_b32_e64 v19, v19, v26, s[6:7]
	v_and_or_b32 v39, v39, 31, v32
	v_cndmask_b32_e64 v21, v21, v29, s[8:9]
	v_cndmask_b32_e64 v19, v19, v28, s[8:9]
	v_mov_b32_dpp v25, v35 quad_perm:[1,2,3,0] row_mask:0xf bank_mask:0xf
	v_mov_b32_dpp v28, v42 quad_perm:[2,3,0,1] row_mask:0xf bank_mask:0xf
	;; [unrolled: 1-line block ×3, first 2 shown]
	v_add_u32_e32 v35, 28, v1
	v_lshlrev_b32_e32 v39, 2, v39
	v_mov_b32_dpp v23, v36 quad_perm:[1,2,3,0] row_mask:0xf bank_mask:0xf
	v_mov_b32_dpp v26, v40 quad_perm:[2,3,0,1] row_mask:0xf bank_mask:0xf
	v_and_or_b32 v35, v35, 31, v32
	v_add_u32_e32 v36, 24, v1
	ds_bpermute_b32 v40, v39, v28
	ds_bpermute_b32 v28, v39, v29
	v_add_u32_e32 v29, 8, v1
	v_mov_b32_dpp v22, v37 quad_perm:[1,2,3,0] row_mask:0xf bank_mask:0xf
	v_lshlrev_b32_e32 v35, 2, v35
	v_and_or_b32 v36, v36, 31, v32
	v_add_u32_e32 v37, 20, v1
	v_and_or_b32 v29, v29, 31, v32
	v_cndmask_b32_e64 v21, v21, v31, s[10:11]
	v_cndmask_b32_e64 v19, v19, v30, s[10:11]
	v_mov_b32_dpp v30, v44 quad_perm:[3,0,1,2] row_mask:0xf bank_mask:0xf
	v_mov_b32_dpp v31, v43 quad_perm:[3,0,1,2] row_mask:0xf bank_mask:0xf
	ds_bpermute_b32 v34, v35, v34
	ds_bpermute_b32 v33, v35, v33
	v_lshlrev_b32_e32 v36, 2, v36
	v_and_or_b32 v37, v37, 31, v32
	v_lshlrev_b32_e32 v29, 2, v29
	v_mov_b32_dpp v24, v38 quad_perm:[1,2,3,0] row_mask:0xf bank_mask:0xf
	ds_bpermute_b32 v22, v36, v22
	ds_bpermute_b32 v23, v36, v23
	v_lshlrev_b32_e32 v37, 2, v37
	v_lshlrev_b32_e32 v38, 2, v1
	ds_bpermute_b32 v41, v29, v30
	ds_bpermute_b32 v30, v29, v31
	v_add_u32_e32 v31, 4, v1
	ds_bpermute_b32 v24, v37, v24
	ds_bpermute_b32 v25, v37, v25
	v_xor_b32_e32 v38, 64, v38
	v_and_or_b32 v31, v31, 31, v32
	v_lshrrev_b32_e32 v32, 2, v1
	ds_bpermute_b32 v26, v38, v26
	ds_bpermute_b32 v27, v38, v27
	v_bfe_u32 v43, v1, 2, 3
	v_add_u32_e32 v45, -1, v32
	v_mov_b32_dpp v19, v19 quad_perm:[3,0,1,2] row_mask:0xf bank_mask:0xf
	v_lshlrev_b32_e32 v31, 2, v31
	v_cmp_eq_u32_e64 s[4:5], 1, v43
	v_and_b32_e32 v45, 7, v45
	ds_bpermute_b32 v42, v31, v19
	s_waitcnt lgkmcnt(9)
	v_cndmask_b32_e64 v19, v20, v33, s[4:5]
	v_cmp_eq_u32_e64 s[6:7], 2, v43
	v_cndmask_b32_e64 v44, v18, v34, s[4:5]
	v_cmp_eq_u32_e64 s[4:5], 1, v45
	v_mov_b32_dpp v21, v21 quad_perm:[3,0,1,2] row_mask:0xf bank_mask:0xf
	s_waitcnt lgkmcnt(7)
	v_cndmask_b32_e64 v19, v19, v23, s[6:7]
	v_cmp_eq_u32_e64 s[8:9], 3, v43
	v_cndmask_b32_e64 v44, v44, v22, s[6:7]
	v_cndmask_b32_e64 v46, v20, v33, s[4:5]
	v_cmp_eq_u32_e64 s[6:7], 2, v45
	ds_bpermute_b32 v21, v31, v21
	s_waitcnt lgkmcnt(4)
	v_cndmask_b32_e64 v19, v19, v25, s[8:9]
	v_cmp_eq_u32_e64 s[10:11], 4, v43
	v_cndmask_b32_e64 v44, v44, v24, s[8:9]
	v_cndmask_b32_e64 v46, v46, v23, s[6:7]
	v_cmp_eq_u32_e64 s[8:9], 3, v45
	s_waitcnt lgkmcnt(2)
	v_cndmask_b32_e64 v19, v19, v27, s[10:11]
	v_cndmask_b32_e64 v44, v44, v26, s[10:11]
	;; [unrolled: 1-line block ×3, first 2 shown]
	v_cmp_eq_u32_e64 s[10:11], 4, v45
	v_cmp_eq_u32_e64 s[12:13], 5, v45
	;; [unrolled: 1-line block ×3, first 2 shown]
	v_cndmask_b32_e64 v46, v46, v27, s[10:11]
	v_cndmask_b32_e64 v46, v46, v28, s[12:13]
	v_add_u32_e32 v47, 6, v32
	v_cndmask_b32_e64 v46, v46, v30, s[14:15]
	v_cmp_eq_u32_e64 s[16:17], 7, v45
	v_and_b32_e32 v47, 7, v47
	v_add_u32_e32 v32, 5, v32
	s_waitcnt lgkmcnt(0)
	v_cndmask_b32_e64 v45, v46, v21, s[16:17]
	v_cndmask_b32_e64 v46, v18, v34, s[4:5]
	v_cmp_eq_u32_e64 s[4:5], 1, v47
	v_cndmask_b32_e64 v46, v46, v22, s[6:7]
	v_cmp_eq_u32_e64 s[6:7], 2, v47
	v_cndmask_b32_e64 v48, v20, v33, s[4:5]
	v_cndmask_b32_e64 v46, v46, v24, s[8:9]
	v_cndmask_b32_e64 v48, v48, v23, s[6:7]
	v_cmp_eq_u32_e64 s[8:9], 3, v47
	v_cndmask_b32_e64 v46, v46, v26, s[10:11]
	v_cmp_eq_u32_e64 s[10:11], 4, v47
	v_cndmask_b32_e64 v48, v48, v25, s[8:9]
	v_cndmask_b32_e64 v46, v46, v40, s[12:13]
	v_cndmask_b32_e64 v48, v48, v27, s[10:11]
	v_cmp_eq_u32_e64 s[12:13], 5, v47
	v_cndmask_b32_e64 v46, v46, v41, s[14:15]
	v_cmp_eq_u32_e64 s[14:15], 6, v47
	v_cndmask_b32_e64 v48, v48, v28, s[12:13]
	v_cndmask_b32_e64 v46, v46, v42, s[16:17]
	v_cndmask_b32_e64 v48, v48, v30, s[14:15]
	v_cmp_eq_u32_e64 s[16:17], 7, v47
	v_and_b32_e32 v32, 7, v32
	v_cmp_eq_u32_e32 vcc, 5, v43
	v_cndmask_b32_e64 v47, v48, v21, s[16:17]
	v_cndmask_b32_e64 v48, v18, v34, s[4:5]
	v_cmp_eq_u32_e64 s[4:5], 1, v32
	v_cndmask_b32_e64 v48, v48, v22, s[6:7]
	v_cmp_eq_u32_e64 s[6:7], 2, v32
	v_cndmask_b32_e64 v49, v20, v33, s[4:5]
	v_cndmask_b32_e64 v48, v48, v24, s[8:9]
	v_cndmask_b32_e64 v49, v49, v23, s[6:7]
	v_cmp_eq_u32_e64 s[8:9], 3, v32
	v_cndmask_b32_e64 v48, v48, v26, s[10:11]
	v_cmp_eq_u32_e64 s[10:11], 4, v32
	v_cndmask_b32_e64 v49, v49, v25, s[8:9]
	v_cndmask_b32_e64 v48, v48, v40, s[12:13]
	;; [unrolled: 1-line block ×3, first 2 shown]
	v_cmp_eq_u32_e64 s[12:13], 5, v32
	v_cmp_eq_u32_e64 s[0:1], 6, v43
	;; [unrolled: 1-line block ×3, first 2 shown]
	v_cndmask_b32_e64 v48, v48, v41, s[14:15]
	v_cndmask_b32_e64 v49, v49, v28, s[12:13]
	v_cmp_eq_u32_e64 s[14:15], 6, v32
	v_xor_b32_e32 v43, 4, v43
	v_cndmask_b32_e64 v48, v48, v42, s[16:17]
	v_cndmask_b32_e64 v49, v49, v30, s[14:15]
	v_cmp_eq_u32_e64 s[16:17], 7, v32
	v_add_u32_e32 v52, -1, v43
	v_and_b32_e32 v52, 7, v52
	v_cndmask_b32_e64 v32, v49, v21, s[16:17]
	v_cndmask_b32_e64 v49, v18, v34, s[4:5]
	v_cmp_eq_u32_e64 s[4:5], 1, v43
	v_cndmask_b32_e64 v49, v49, v22, s[6:7]
	v_cmp_eq_u32_e64 s[6:7], 2, v43
	v_cndmask_b32_e64 v50, v20, v33, s[4:5]
	v_cndmask_b32_e64 v51, v18, v34, s[4:5]
	v_cmp_eq_u32_e64 s[4:5], 1, v52
	v_cndmask_b32_e64 v49, v49, v24, s[8:9]
	;; [unrolled: 3-line block ×11, first 2 shown]
	v_cndmask_b32_e64 v53, v53, v28, s[12:13]
	v_cmp_eq_u32_e64 s[14:15], 6, v52
	v_add_u32_e32 v54, 6, v43
	v_cndmask_b32_e64 v50, v50, v21, s[16:17]
	v_cndmask_b32_e64 v51, v51, v42, s[16:17]
	;; [unrolled: 1-line block ×3, first 2 shown]
	v_cmp_eq_u32_e64 s[16:17], 7, v52
	v_and_b32_e32 v54, 7, v54
	v_add_u32_e32 v43, 5, v43
	v_cndmask_b32_e64 v52, v53, v21, s[16:17]
	v_cndmask_b32_e64 v53, v18, v34, s[4:5]
	v_cmp_eq_u32_e64 s[4:5], 1, v54
	v_cndmask_b32_e64 v53, v53, v22, s[6:7]
	v_cmp_eq_u32_e64 s[6:7], 2, v54
	v_cndmask_b32_e64 v55, v20, v33, s[4:5]
	v_cndmask_b32_e64 v53, v53, v24, s[8:9]
	v_cndmask_b32_e64 v55, v55, v23, s[6:7]
	v_cmp_eq_u32_e64 s[8:9], 3, v54
	v_cndmask_b32_e64 v53, v53, v26, s[10:11]
	v_cmp_eq_u32_e64 s[10:11], 4, v54
	v_cndmask_b32_e64 v55, v55, v25, s[8:9]
	;; [unrolled: 6-line block ×3, first 2 shown]
	v_cndmask_b32_e64 v53, v53, v42, s[16:17]
	v_cndmask_b32_e64 v55, v55, v30, s[14:15]
	v_cmp_eq_u32_e64 s[16:17], 7, v54
	v_and_b32_e32 v43, 7, v43
	v_cndmask_b32_e32 v19, v19, v28, vcc
	v_cndmask_b32_e64 v54, v55, v21, s[16:17]
	v_cndmask_b32_e64 v55, v18, v34, s[4:5]
	v_cmp_eq_u32_e64 s[4:5], 1, v43
	v_cndmask_b32_e64 v55, v55, v22, s[6:7]
	v_cmp_eq_u32_e64 s[6:7], 2, v43
	v_cndmask_b32_e64 v18, v18, v34, s[4:5]
	v_cndmask_b32_e64 v55, v55, v24, s[8:9]
	v_cmp_eq_u32_e64 s[8:9], 3, v43
	v_cndmask_b32_e64 v18, v18, v22, s[6:7]
	v_cndmask_b32_e64 v55, v55, v26, s[10:11]
	v_cndmask_b32_e64 v20, v20, v33, s[4:5]
	v_cmp_eq_u32_e64 s[10:11], 4, v43
	v_cndmask_b32_e64 v18, v18, v24, s[8:9]
	;; [unrolled: 4-line block ×5, first 2 shown]
	v_cndmask_b32_e64 v20, v20, v28, s[12:13]
	v_cndmask_b32_e64 v18, v18, v42, s[16:17]
	;; [unrolled: 1-line block ×3, first 2 shown]
	ds_bpermute_b32 v25, v39, v32
	ds_bpermute_b32 v32, v35, v18
	v_cndmask_b32_e32 v18, v44, v40, vcc
	v_cndmask_b32_e64 v19, v19, v30, s[0:1]
	v_cndmask_b32_e64 v33, v20, v21, s[16:17]
	;; [unrolled: 1-line block ×4, first 2 shown]
	ds_bpermute_b32 v20, v31, v46
	ds_bpermute_b32 v21, v31, v45
	;; [unrolled: 1-line block ×12, first 2 shown]
	v_cndmask_b32_e64 v18, v18, v42, s[2:3]
	s_cbranch_execz .LBB32_3
	s_branch .LBB32_4
.LBB32_2:
                                        ; implicit-def: $vgpr32_vgpr33
                                        ; implicit-def: $vgpr28_vgpr29
                                        ; implicit-def: $vgpr24_vgpr25
                                        ; implicit-def: $vgpr20_vgpr21
.LBB32_3:
	s_waitcnt lgkmcnt(11)
	v_and_b32_e32 v20, 3, v1
	s_waitcnt vmcnt(0)
	v_mov_b32_dpp v8, v8 quad_perm:[3,0,1,2] row_mask:0xf bank_mask:0xf
	v_mov_b32_dpp v9, v9 quad_perm:[3,0,1,2] row_mask:0xf bank_mask:0xf
	v_cmp_eq_u32_e32 vcc, 1, v20
	s_waitcnt lgkmcnt(10)
	v_or_b32_e32 v21, 4, v20
	v_mov_b32_dpp v14, v14 quad_perm:[2,3,0,1] row_mask:0xf bank_mask:0xf
	v_mov_b32_dpp v15, v15 quad_perm:[2,3,0,1] row_mask:0xf bank_mask:0xf
	;; [unrolled: 1-line block ×4, first 2 shown]
	v_cndmask_b32_e32 v4, v6, v8, vcc
	v_cmp_eq_u32_e64 s[0:1], 2, v20
	v_cndmask_b32_e32 v5, v7, v9, vcc
	v_cmp_eq_u32_e32 vcc, 1, v21
	v_mov_b32_dpp v16, v16 quad_perm:[1,2,3,0] row_mask:0xf bank_mask:0xf
	v_mov_b32_dpp v17, v17 quad_perm:[1,2,3,0] row_mask:0xf bank_mask:0xf
	v_cndmask_b32_e64 v4, v4, v14, s[0:1]
	v_cmp_eq_u32_e64 s[2:3], 3, v20
	v_cndmask_b32_e64 v5, v5, v15, s[0:1]
	s_waitcnt lgkmcnt(9)
	v_cndmask_b32_e32 v22, v7, v9, vcc
	v_cmp_eq_u32_e64 s[0:1], 2, v21
	v_cndmask_b32_e64 v4, v4, v16, s[2:3]
	v_cmp_eq_u32_e64 s[4:5], 4, v20
	v_cndmask_b32_e64 v5, v5, v17, s[2:3]
	v_cndmask_b32_e64 v22, v22, v15, s[0:1]
	v_cmp_eq_u32_e64 s[2:3], 3, v21
	v_cndmask_b32_e64 v4, v4, v2, s[4:5]
	v_cmp_eq_u32_e64 s[6:7], 5, v20
	v_cndmask_b32_e64 v5, v5, v3, s[4:5]
	v_cndmask_b32_e64 v22, v22, v17, s[2:3]
	v_cmp_eq_u32_e64 s[4:5], 4, v21
	v_mov_b32_dpp v10, v10 quad_perm:[2,3,0,1] row_mask:0xf bank_mask:0xf
	v_mov_b32_dpp v11, v11 quad_perm:[2,3,0,1] row_mask:0xf bank_mask:0xf
	v_cndmask_b32_e64 v4, v4, v18, s[6:7]
	v_cmp_eq_u32_e64 s[8:9], 6, v20
	v_cndmask_b32_e64 v5, v5, v19, s[6:7]
	v_cndmask_b32_e64 v22, v22, v3, s[4:5]
	v_cmp_eq_u32_e64 s[6:7], 5, v21
	v_mov_b32_dpp v12, v12 quad_perm:[1,2,3,0] row_mask:0xf bank_mask:0xf
	v_mov_b32_dpp v13, v13 quad_perm:[1,2,3,0] row_mask:0xf bank_mask:0xf
	v_cndmask_b32_e64 v4, v4, v10, s[8:9]
	v_cmp_eq_u32_e64 s[10:11], 7, v20
	v_cndmask_b32_e64 v5, v5, v11, s[8:9]
	v_cndmask_b32_e64 v22, v22, v19, s[6:7]
	v_cmp_eq_u32_e64 s[8:9], 6, v21
	v_cndmask_b32_e64 v4, v4, v12, s[10:11]
	v_cndmask_b32_e64 v5, v5, v13, s[10:11]
	;; [unrolled: 1-line block ×3, first 2 shown]
	v_cmp_eq_u32_e64 s[10:11], 7, v21
	s_waitcnt lgkmcnt(8)
	v_add_u32_e32 v23, -1, v1
	v_and_b32_e32 v23, 3, v23
	v_cndmask_b32_e64 v21, v22, v13, s[10:11]
	v_cndmask_b32_e32 v22, v6, v8, vcc
	v_cndmask_b32_e64 v22, v22, v14, s[0:1]
	v_cndmask_b32_e64 v22, v22, v16, s[2:3]
	;; [unrolled: 1-line block ×6, first 2 shown]
	v_cmp_eq_u32_e32 vcc, 1, v23
	v_cmp_eq_u32_e64 s[0:1], 2, v23
	v_cmp_eq_u32_e64 s[2:3], 3, v23
	;; [unrolled: 1-line block ×6, first 2 shown]
	v_or_b32_e32 v23, 4, v23
	s_waitcnt lgkmcnt(7)
	v_cndmask_b32_e32 v24, v7, v9, vcc
	v_cndmask_b32_e32 v25, v6, v8, vcc
	v_cmp_eq_u32_e32 vcc, 1, v23
	v_cndmask_b32_e64 v24, v24, v15, s[0:1]
	v_cndmask_b32_e64 v25, v25, v14, s[0:1]
	s_waitcnt lgkmcnt(6)
	v_cndmask_b32_e32 v26, v7, v9, vcc
	v_cmp_eq_u32_e64 s[0:1], 2, v23
	v_cndmask_b32_e64 v24, v24, v17, s[2:3]
	v_cndmask_b32_e64 v25, v25, v16, s[2:3]
	v_cndmask_b32_e64 v26, v26, v15, s[0:1]
	v_cmp_eq_u32_e64 s[2:3], 3, v23
	v_cndmask_b32_e64 v24, v24, v3, s[4:5]
	v_cndmask_b32_e64 v25, v25, v2, s[4:5]
	v_cndmask_b32_e64 v26, v26, v17, s[2:3]
	v_cmp_eq_u32_e64 s[4:5], 4, v23
	v_cndmask_b32_e64 v24, v24, v19, s[6:7]
	v_cndmask_b32_e64 v25, v25, v18, s[6:7]
	v_cndmask_b32_e64 v26, v26, v3, s[4:5]
	v_cmp_eq_u32_e64 s[6:7], 5, v23
	v_cndmask_b32_e64 v24, v24, v11, s[8:9]
	v_cndmask_b32_e64 v25, v25, v10, s[8:9]
	v_cndmask_b32_e64 v26, v26, v19, s[6:7]
	v_cmp_eq_u32_e64 s[8:9], 6, v23
	v_cndmask_b32_e64 v24, v24, v13, s[10:11]
	v_cndmask_b32_e64 v25, v25, v12, s[10:11]
	v_cndmask_b32_e64 v26, v26, v11, s[8:9]
	v_cmp_eq_u32_e64 s[10:11], 7, v23
	v_xor_b32_e32 v20, 2, v20
	s_waitcnt lgkmcnt(3)
	v_or_b32_e32 v29, 4, v20
	v_cndmask_b32_e64 v23, v26, v13, s[10:11]
	v_cndmask_b32_e32 v26, v6, v8, vcc
	v_cmp_eq_u32_e32 vcc, 1, v20
	v_cndmask_b32_e64 v26, v26, v14, s[0:1]
	v_cmp_eq_u32_e64 s[0:1], 2, v20
	v_cndmask_b32_e32 v27, v7, v9, vcc
	v_cndmask_b32_e32 v28, v6, v8, vcc
	v_cmp_eq_u32_e32 vcc, 1, v29
	v_cndmask_b32_e64 v26, v26, v16, s[2:3]
	v_cndmask_b32_e64 v27, v27, v15, s[0:1]
	v_cmp_eq_u32_e64 s[2:3], 3, v20
	v_cndmask_b32_e64 v28, v28, v14, s[0:1]
	s_waitcnt lgkmcnt(2)
	v_cndmask_b32_e32 v30, v7, v9, vcc
	v_cmp_eq_u32_e64 s[0:1], 2, v29
	v_cndmask_b32_e64 v26, v26, v2, s[4:5]
	v_cndmask_b32_e64 v27, v27, v17, s[2:3]
	v_cmp_eq_u32_e64 s[4:5], 4, v20
	v_cndmask_b32_e64 v28, v28, v16, s[2:3]
	v_cndmask_b32_e64 v30, v30, v15, s[0:1]
	;; [unrolled: 3-line block ×8, first 2 shown]
	v_cmp_eq_u32_e64 s[8:9], 6, v29
	v_add_u32_e32 v20, 3, v20
	v_cndmask_b32_e64 v27, v27, v13, s[10:11]
	v_cndmask_b32_e64 v28, v28, v12, s[10:11]
	;; [unrolled: 1-line block ×3, first 2 shown]
	v_cmp_eq_u32_e64 s[10:11], 7, v29
	s_waitcnt lgkmcnt(1)
	v_and_b32_e32 v31, 3, v20
	v_or_b32_e32 v20, 4, v20
	v_cndmask_b32_e64 v29, v30, v13, s[10:11]
	v_cndmask_b32_e32 v30, v6, v8, vcc
	v_cmp_eq_u32_e32 vcc, 1, v31
	v_cndmask_b32_e64 v30, v30, v14, s[0:1]
	v_cmp_eq_u32_e64 s[0:1], 2, v31
	v_cndmask_b32_e32 v32, v7, v9, vcc
	v_cndmask_b32_e64 v30, v30, v16, s[2:3]
	v_cndmask_b32_e64 v32, v32, v15, s[0:1]
	v_cmp_eq_u32_e64 s[2:3], 3, v31
	v_cndmask_b32_e64 v30, v30, v2, s[4:5]
	v_cmp_eq_u32_e64 s[4:5], 4, v31
	v_cndmask_b32_e64 v32, v32, v17, s[2:3]
	v_cndmask_b32_e64 v30, v30, v18, s[6:7]
	;; [unrolled: 1-line block ×3, first 2 shown]
	v_cmp_eq_u32_e64 s[6:7], 5, v31
	v_cndmask_b32_e64 v30, v30, v10, s[8:9]
	v_cmp_eq_u32_e64 s[8:9], 6, v31
	v_cndmask_b32_e64 v32, v32, v19, s[6:7]
	v_cndmask_b32_e64 v30, v30, v12, s[10:11]
	;; [unrolled: 1-line block ×3, first 2 shown]
	v_cmp_eq_u32_e64 s[10:11], 7, v31
	s_nop 1
	v_cndmask_b32_e64 v31, v32, v13, s[10:11]
	v_cndmask_b32_e32 v32, v6, v8, vcc
	v_cmp_eq_u32_e32 vcc, 1, v20
	v_cndmask_b32_e64 v32, v32, v14, s[0:1]
	v_cmp_eq_u32_e64 s[0:1], 2, v20
	v_cndmask_b32_e32 v7, v7, v9, vcc
	v_cndmask_b32_e64 v32, v32, v16, s[2:3]
	v_cndmask_b32_e64 v7, v7, v15, s[0:1]
	v_cmp_eq_u32_e64 s[2:3], 3, v20
	v_cndmask_b32_e64 v32, v32, v2, s[4:5]
	v_cmp_eq_u32_e64 s[4:5], 4, v20
	v_cndmask_b32_e64 v7, v7, v17, s[2:3]
	v_cndmask_b32_e32 v6, v6, v8, vcc
	v_cndmask_b32_e64 v32, v32, v18, s[6:7]
	v_cndmask_b32_e64 v3, v7, v3, s[4:5]
	v_cmp_eq_u32_e64 s[6:7], 5, v20
	v_cndmask_b32_e64 v6, v6, v14, s[0:1]
	v_cndmask_b32_e64 v6, v6, v16, s[2:3]
	;; [unrolled: 1-line block ×3, first 2 shown]
	v_and_b32_e32 v16, 0x60, v1
	v_add_u32_e32 v19, 24, v1
	v_and_or_b32 v19, v19, 31, v16
	v_cndmask_b32_e64 v32, v32, v10, s[8:9]
	v_cmp_eq_u32_e64 s[8:9], 6, v20
	v_mov_b32_dpp v15, v31 quad_perm:[3,0,1,2] row_mask:0xf bank_mask:0xf
	v_lshlrev_b32_e32 v31, 2, v19
	v_add_u32_e32 v19, 20, v1
	v_cndmask_b32_e64 v32, v32, v12, s[10:11]
	v_cndmask_b32_e64 v3, v3, v11, s[8:9]
	v_cmp_eq_u32_e64 s[10:11], 7, v20
	v_add_u32_e32 v17, 28, v1
	v_and_or_b32 v19, v19, 31, v16
	v_cndmask_b32_e64 v3, v3, v13, s[10:11]
	v_mov_b32_dpp v13, v29 quad_perm:[2,3,0,1] row_mask:0xf bank_mask:0xf
	v_and_or_b32 v17, v17, 31, v16
	v_lshlrev_b32_e32 v29, 2, v19
	v_lshlrev_b32_e32 v19, 2, v1
	v_cndmask_b32_e64 v2, v6, v2, s[4:5]
	v_mov_b32_dpp v11, v27 quad_perm:[2,3,0,1] row_mask:0xf bank_mask:0xf
	v_lshlrev_b32_e32 v17, 2, v17
	v_xor_b32_e32 v27, 64, v19
	v_add_u32_e32 v19, 12, v1
	v_cndmask_b32_e64 v2, v2, v18, s[6:7]
	v_mov_b32_dpp v6, v25 quad_perm:[1,2,3,0] row_mask:0xf bank_mask:0xf
	ds_bpermute_b32 v18, v17, v22
	v_and_or_b32 v19, v19, 31, v16
	v_mov_b32_dpp v8, v26 quad_perm:[1,2,3,0] row_mask:0xf bank_mask:0xf
	ds_bpermute_b32 v6, v31, v6
	v_lshlrev_b32_e32 v25, 2, v19
	v_add_u32_e32 v19, 8, v1
	ds_bpermute_b32 v8, v29, v8
	v_and_or_b32 v19, v19, 31, v16
	v_mov_b32_dpp v9, v23 quad_perm:[1,2,3,0] row_mask:0xf bank_mask:0xf
	ds_bpermute_b32 v20, v17, v21
	v_lshlrev_b32_e32 v23, 2, v19
	v_add_u32_e32 v19, 4, v1
	v_lshrrev_b32_e32 v21, 2, v1
	v_bfe_u32 v1, v1, 2, 3
	v_mov_b32_dpp v7, v24 quad_perm:[1,2,3,0] row_mask:0xf bank_mask:0xf
	v_cmp_eq_u32_e64 s[6:7], 1, v1
	v_cndmask_b32_e64 v2, v2, v10, s[8:9]
	ds_bpermute_b32 v7, v31, v7
	v_cmp_eq_u32_e64 s[8:9], 2, v1
	s_waitcnt lgkmcnt(4)
	v_cndmask_b32_e64 v22, v4, v18, s[6:7]
	v_cndmask_b32_e64 v2, v2, v12, s[10:11]
	ds_bpermute_b32 v9, v29, v9
	v_cmp_eq_u32_e64 s[10:11], 3, v1
	s_waitcnt lgkmcnt(4)
	v_cndmask_b32_e64 v22, v22, v6, s[8:9]
	ds_bpermute_b32 v11, v27, v11
	s_waitcnt lgkmcnt(4)
	v_cndmask_b32_e64 v34, v22, v8, s[10:11]
	v_add_u32_e32 v22, -1, v21
	v_and_b32_e32 v22, 7, v22
	ds_bpermute_b32 v13, v25, v13
	v_and_or_b32 v16, v19, 31, v16
	s_waitcnt lgkmcnt(4)
	v_cndmask_b32_e64 v19, v5, v20, s[6:7]
	v_cmp_eq_u32_e64 s[6:7], 1, v22
	v_mov_b32_dpp v3, v3 quad_perm:[3,0,1,2] row_mask:0xf bank_mask:0xf
	ds_bpermute_b32 v15, v23, v15
	v_lshlrev_b32_e32 v16, 2, v16
	s_waitcnt lgkmcnt(4)
	v_cndmask_b32_e64 v19, v19, v7, s[8:9]
	v_cndmask_b32_e64 v24, v5, v20, s[6:7]
	v_cmp_eq_u32_e64 s[8:9], 2, v22
	ds_bpermute_b32 v3, v16, v3
	s_waitcnt lgkmcnt(4)
	v_cndmask_b32_e64 v19, v19, v9, s[10:11]
	v_cndmask_b32_e64 v24, v24, v7, s[8:9]
	v_cmp_eq_u32_e64 s[10:11], 3, v22
	v_cmp_eq_u32_e64 s[12:13], 4, v22
	v_mov_b32_dpp v10, v28 quad_perm:[2,3,0,1] row_mask:0xf bank_mask:0xf
	v_cndmask_b32_e64 v24, v24, v9, s[10:11]
	s_waitcnt lgkmcnt(3)
	v_cndmask_b32_e64 v24, v24, v11, s[12:13]
	v_cmp_eq_u32_e64 s[14:15], 5, v22
	v_mov_b32_dpp v12, v30 quad_perm:[2,3,0,1] row_mask:0xf bank_mask:0xf
	ds_bpermute_b32 v10, v27, v10
	s_waitcnt lgkmcnt(3)
	v_cndmask_b32_e64 v24, v24, v13, s[14:15]
	v_cmp_eq_u32_e64 s[16:17], 6, v22
	v_add_u32_e32 v26, 6, v21
	v_mov_b32_dpp v14, v32 quad_perm:[3,0,1,2] row_mask:0xf bank_mask:0xf
	ds_bpermute_b32 v12, v25, v12
	s_waitcnt lgkmcnt(3)
	v_cndmask_b32_e64 v24, v24, v15, s[16:17]
	v_cmp_eq_u32_e64 s[18:19], 7, v22
	v_and_b32_e32 v26, 7, v26
	v_mov_b32_dpp v2, v2 quad_perm:[3,0,1,2] row_mask:0xf bank_mask:0xf
	ds_bpermute_b32 v14, v23, v14
	s_waitcnt lgkmcnt(3)
	v_cndmask_b32_e64 v22, v24, v3, s[18:19]
	v_cndmask_b32_e64 v24, v4, v18, s[6:7]
	v_cmp_eq_u32_e64 s[6:7], 1, v26
	ds_bpermute_b32 v2, v16, v2
	v_cndmask_b32_e64 v24, v24, v6, s[8:9]
	v_cndmask_b32_e64 v28, v5, v20, s[6:7]
	v_cmp_eq_u32_e64 s[8:9], 2, v26
	v_cndmask_b32_e64 v24, v24, v8, s[10:11]
	v_cmp_eq_u32_e64 s[10:11], 3, v26
	v_cndmask_b32_e64 v28, v28, v7, s[8:9]
	s_waitcnt lgkmcnt(3)
	v_cndmask_b32_e64 v24, v24, v10, s[12:13]
	v_cndmask_b32_e64 v28, v28, v9, s[10:11]
	v_cmp_eq_u32_e64 s[12:13], 4, v26
	s_waitcnt lgkmcnt(2)
	v_cndmask_b32_e64 v24, v24, v12, s[14:15]
	v_cmp_eq_u32_e64 s[14:15], 5, v26
	v_cndmask_b32_e64 v28, v28, v11, s[12:13]
	s_waitcnt lgkmcnt(1)
	v_cndmask_b32_e64 v24, v24, v14, s[16:17]
	v_cndmask_b32_e64 v28, v28, v13, s[14:15]
	v_cmp_eq_u32_e64 s[16:17], 6, v26
	s_waitcnt lgkmcnt(0)
	v_cndmask_b32_e64 v24, v24, v2, s[18:19]
	v_cmp_eq_u32_e64 s[18:19], 7, v26
	v_cndmask_b32_e64 v28, v28, v15, s[16:17]
	v_add_u32_e32 v21, 5, v21
	v_cndmask_b32_e64 v26, v28, v3, s[18:19]
	v_cndmask_b32_e64 v28, v4, v18, s[6:7]
	;; [unrolled: 1-line block ×6, first 2 shown]
	v_and_b32_e32 v21, 7, v21
	v_cndmask_b32_e64 v28, v28, v14, s[16:17]
	v_cmp_eq_u32_e64 s[6:7], 1, v21
	v_cndmask_b32_e64 v28, v28, v2, s[18:19]
	v_cmp_eq_u32_e64 s[8:9], 2, v21
	v_cmp_eq_u32_e64 s[10:11], 3, v21
	;; [unrolled: 1-line block ×6, first 2 shown]
	v_cndmask_b32_e64 v21, v4, v18, s[6:7]
	v_cndmask_b32_e64 v21, v21, v6, s[8:9]
	;; [unrolled: 1-line block ×4, first 2 shown]
	v_cmp_eq_u32_e32 vcc, 4, v1
	v_cmp_eq_u32_e64 s[0:1], 5, v1
	v_cmp_eq_u32_e64 s[2:3], 6, v1
	;; [unrolled: 1-line block ×3, first 2 shown]
	v_cndmask_b32_e64 v21, v21, v12, s[14:15]
	v_xor_b32_e32 v1, 4, v1
	v_cndmask_b32_e64 v30, v5, v20, s[6:7]
	v_cndmask_b32_e64 v21, v21, v14, s[16:17]
	v_cmp_eq_u32_e64 s[6:7], 1, v1
	v_cndmask_b32_e64 v30, v30, v7, s[8:9]
	v_cndmask_b32_e64 v32, v21, v2, s[18:19]
	v_cndmask_b32_e64 v21, v5, v20, s[6:7]
	v_cmp_eq_u32_e64 s[8:9], 2, v1
	v_cndmask_b32_e64 v30, v30, v9, s[10:11]
	v_cmp_eq_u32_e64 s[10:11], 3, v1
	v_cndmask_b32_e64 v21, v21, v7, s[8:9]
	v_cndmask_b32_e64 v30, v30, v11, s[12:13]
	v_cndmask_b32_e64 v21, v21, v9, s[10:11]
	v_cmp_eq_u32_e64 s[12:13], 4, v1
	;; [unrolled: 6-line block ×3, first 2 shown]
	v_cndmask_b32_e64 v30, v30, v3, s[18:19]
	v_cmp_eq_u32_e64 s[18:19], 7, v1
	v_cndmask_b32_e64 v21, v21, v15, s[16:17]
	v_cndmask_b32_e32 v19, v19, v11, vcc
	v_cndmask_b32_e64 v33, v21, v3, s[18:19]
	v_cndmask_b32_e64 v21, v4, v18, s[6:7]
	;; [unrolled: 1-line block ×8, first 2 shown]
	v_add_u32_e32 v21, -1, v1
	v_and_b32_e32 v21, 7, v21
	v_cmp_eq_u32_e64 s[6:7], 1, v21
	v_cmp_eq_u32_e64 s[8:9], 2, v21
	;; [unrolled: 1-line block ×7, first 2 shown]
	v_cndmask_b32_e64 v21, v4, v18, s[6:7]
	v_cndmask_b32_e64 v21, v21, v6, s[8:9]
	;; [unrolled: 1-line block ×11, first 2 shown]
	v_add_u32_e32 v21, 6, v1
	v_cndmask_b32_e64 v36, v36, v13, s[14:15]
	v_and_b32_e32 v21, 7, v21
	v_add_u32_e32 v1, 5, v1
	v_cndmask_b32_e64 v36, v36, v15, s[16:17]
	v_cmp_eq_u32_e64 s[6:7], 1, v21
	v_and_b32_e32 v1, 7, v1
	v_cndmask_b32_e64 v36, v36, v3, s[18:19]
	v_cndmask_b32_e64 v38, v5, v20, s[6:7]
	v_cmp_eq_u32_e64 s[8:9], 2, v21
	v_cmp_eq_u32_e64 s[10:11], 3, v21
	;; [unrolled: 1-line block ×6, first 2 shown]
	v_cndmask_b32_e64 v21, v4, v18, s[6:7]
	v_cmp_eq_u32_e64 s[6:7], 1, v1
	v_cndmask_b32_e64 v38, v38, v7, s[8:9]
	v_cndmask_b32_e64 v21, v21, v6, s[8:9]
	v_cndmask_b32_e64 v5, v5, v20, s[6:7]
	v_cmp_eq_u32_e64 s[8:9], 2, v1
	v_cndmask_b32_e64 v38, v38, v9, s[10:11]
	v_cndmask_b32_e64 v21, v21, v8, s[10:11]
	;; [unrolled: 4-line block ×5, first 2 shown]
	v_cndmask_b32_e64 v21, v21, v14, s[16:17]
	v_cndmask_b32_e64 v5, v5, v13, s[14:15]
	v_cmp_eq_u32_e64 s[16:17], 6, v1
	v_cndmask_b32_e64 v19, v19, v15, s[2:3]
	v_cndmask_b32_e64 v38, v38, v3, s[18:19]
	;; [unrolled: 1-line block ×4, first 2 shown]
	v_cmp_eq_u32_e64 s[18:19], 7, v1
	v_cndmask_b32_e64 v19, v19, v3, s[4:5]
	ds_bpermute_b32 v20, v16, v24
	v_cndmask_b32_e64 v1, v5, v3, s[18:19]
	v_cndmask_b32_e64 v3, v4, v18, s[6:7]
	;; [unrolled: 1-line block ×8, first 2 shown]
	ds_bpermute_b32 v21, v16, v22
	ds_bpermute_b32 v22, v23, v28
	;; [unrolled: 1-line block ×13, first 2 shown]
	v_cndmask_b32_e32 v1, v34, v10, vcc
	v_cndmask_b32_e64 v1, v1, v12, s[0:1]
	v_cndmask_b32_e64 v1, v1, v14, s[2:3]
	;; [unrolled: 1-line block ×3, first 2 shown]
.LBB32_4:
	v_lshlrev_b32_e32 v0, 3, v0
	s_waitcnt lgkmcnt(10)
	global_store_dwordx4 v0, v[18:21], s[22:23]
	s_waitcnt lgkmcnt(7)
	global_store_dwordx4 v0, v[22:25], s[22:23] offset:16
	s_waitcnt lgkmcnt(3)
	global_store_dwordx4 v0, v[26:29], s[22:23] offset:32
	;; [unrolled: 2-line block ×3, first 2 shown]
	s_endpgm
	.section	.rodata,"a",@progbits
	.p2align	6, 0x0
	.amdhsa_kernel _Z20warp_exchange_kernelILj8ELj32EN6common25BlockedToStripedShuffleOpEdEvPT2_S3_b
		.amdhsa_group_segment_fixed_size 0
		.amdhsa_private_segment_fixed_size 0
		.amdhsa_kernarg_size 20
		.amdhsa_user_sgpr_count 2
		.amdhsa_user_sgpr_dispatch_ptr 0
		.amdhsa_user_sgpr_queue_ptr 0
		.amdhsa_user_sgpr_kernarg_segment_ptr 1
		.amdhsa_user_sgpr_dispatch_id 0
		.amdhsa_user_sgpr_kernarg_preload_length 0
		.amdhsa_user_sgpr_kernarg_preload_offset 0
		.amdhsa_user_sgpr_private_segment_size 0
		.amdhsa_uses_dynamic_stack 0
		.amdhsa_enable_private_segment 0
		.amdhsa_system_sgpr_workgroup_id_x 1
		.amdhsa_system_sgpr_workgroup_id_y 0
		.amdhsa_system_sgpr_workgroup_id_z 0
		.amdhsa_system_sgpr_workgroup_info 0
		.amdhsa_system_vgpr_workitem_id 0
		.amdhsa_next_free_vgpr 56
		.amdhsa_next_free_sgpr 24
		.amdhsa_accum_offset 56
		.amdhsa_reserve_vcc 1
		.amdhsa_float_round_mode_32 0
		.amdhsa_float_round_mode_16_64 0
		.amdhsa_float_denorm_mode_32 3
		.amdhsa_float_denorm_mode_16_64 3
		.amdhsa_dx10_clamp 1
		.amdhsa_ieee_mode 1
		.amdhsa_fp16_overflow 0
		.amdhsa_tg_split 0
		.amdhsa_exception_fp_ieee_invalid_op 0
		.amdhsa_exception_fp_denorm_src 0
		.amdhsa_exception_fp_ieee_div_zero 0
		.amdhsa_exception_fp_ieee_overflow 0
		.amdhsa_exception_fp_ieee_underflow 0
		.amdhsa_exception_fp_ieee_inexact 0
		.amdhsa_exception_int_div_zero 0
	.end_amdhsa_kernel
	.section	.text._Z20warp_exchange_kernelILj8ELj32EN6common25BlockedToStripedShuffleOpEdEvPT2_S3_b,"axG",@progbits,_Z20warp_exchange_kernelILj8ELj32EN6common25BlockedToStripedShuffleOpEdEvPT2_S3_b,comdat
.Lfunc_end32:
	.size	_Z20warp_exchange_kernelILj8ELj32EN6common25BlockedToStripedShuffleOpEdEvPT2_S3_b, .Lfunc_end32-_Z20warp_exchange_kernelILj8ELj32EN6common25BlockedToStripedShuffleOpEdEvPT2_S3_b
                                        ; -- End function
	.section	.AMDGPU.csdata,"",@progbits
; Kernel info:
; codeLenInByte = 6700
; NumSgprs: 30
; NumVgprs: 56
; NumAgprs: 0
; TotalNumVgprs: 56
; ScratchSize: 0
; MemoryBound: 1
; FloatMode: 240
; IeeeMode: 1
; LDSByteSize: 0 bytes/workgroup (compile time only)
; SGPRBlocks: 3
; VGPRBlocks: 6
; NumSGPRsForWavesPerEU: 30
; NumVGPRsForWavesPerEU: 56
; AccumOffset: 56
; Occupancy: 8
; WaveLimiterHint : 0
; COMPUTE_PGM_RSRC2:SCRATCH_EN: 0
; COMPUTE_PGM_RSRC2:USER_SGPR: 2
; COMPUTE_PGM_RSRC2:TRAP_HANDLER: 0
; COMPUTE_PGM_RSRC2:TGID_X_EN: 1
; COMPUTE_PGM_RSRC2:TGID_Y_EN: 0
; COMPUTE_PGM_RSRC2:TGID_Z_EN: 0
; COMPUTE_PGM_RSRC2:TIDIG_COMP_CNT: 0
; COMPUTE_PGM_RSRC3_GFX90A:ACCUM_OFFSET: 13
; COMPUTE_PGM_RSRC3_GFX90A:TG_SPLIT: 0
	.section	.text._Z20warp_exchange_kernelILj16ELj64EN6common25BlockedToStripedShuffleOpEfEvPT2_S3_b,"axG",@progbits,_Z20warp_exchange_kernelILj16ELj64EN6common25BlockedToStripedShuffleOpEfEvPT2_S3_b,comdat
	.protected	_Z20warp_exchange_kernelILj16ELj64EN6common25BlockedToStripedShuffleOpEfEvPT2_S3_b ; -- Begin function _Z20warp_exchange_kernelILj16ELj64EN6common25BlockedToStripedShuffleOpEfEvPT2_S3_b
	.globl	_Z20warp_exchange_kernelILj16ELj64EN6common25BlockedToStripedShuffleOpEfEvPT2_S3_b
	.p2align	8
	.type	_Z20warp_exchange_kernelILj16ELj64EN6common25BlockedToStripedShuffleOpEfEvPT2_S3_b,@function
_Z20warp_exchange_kernelILj16ELj64EN6common25BlockedToStripedShuffleOpEfEvPT2_S3_b: ; @_Z20warp_exchange_kernelILj16ELj64EN6common25BlockedToStripedShuffleOpEfEvPT2_S3_b
; %bb.0:
	s_load_dwordx4 s[28:31], s[0:1], 0x0
	s_load_dword s2, s[0:1], 0x10
	v_lshlrev_b32_e32 v1, 6, v0
	s_waitcnt lgkmcnt(0)
	global_load_dwordx4 v[14:17], v1, s[28:29]
	global_load_dwordx4 v[10:13], v1, s[28:29] offset:16
	global_load_dwordx4 v[6:9], v1, s[28:29] offset:32
	;; [unrolled: 1-line block ×3, first 2 shown]
	v_lshlrev_b32_e32 v1, 4, v0
	v_mbcnt_lo_u32_b32 v0, -1, 0
	s_bitcmp0_b32 s2, 0
	v_mbcnt_hi_u32_b32 v32, -1, v0
	s_cbranch_scc0 .LBB33_2
; %bb.1:
	v_and_b32_e32 v36, 3, v32
	s_waitcnt vmcnt(3)
	v_mov_b32_dpp v28, v15 quad_perm:[3,0,1,2] row_mask:0xf bank_mask:0xf
	v_cmp_eq_u32_e32 vcc, 1, v36
	v_mov_b32_dpp v27, v16 quad_perm:[2,3,0,1] row_mask:0xf bank_mask:0xf
	v_mov_b32_dpp v26, v17 quad_perm:[1,2,3,0] row_mask:0xf bank_mask:0xf
	v_cndmask_b32_e32 v29, v14, v28, vcc
	v_cmp_eq_u32_e32 vcc, 2, v36
	s_waitcnt vmcnt(2)
	v_mov_b32_dpp v25, v11 quad_perm:[3,0,1,2] row_mask:0xf bank_mask:0xf
	v_mov_b32_dpp v24, v12 quad_perm:[2,3,0,1] row_mask:0xf bank_mask:0xf
	v_cndmask_b32_e32 v29, v29, v27, vcc
	v_cmp_eq_u32_e32 vcc, 3, v36
	v_mov_b32_dpp v23, v13 quad_perm:[1,2,3,0] row_mask:0xf bank_mask:0xf
	s_waitcnt vmcnt(1)
	v_mov_b32_dpp v22, v7 quad_perm:[3,0,1,2] row_mask:0xf bank_mask:0xf
	v_cndmask_b32_e32 v29, v29, v26, vcc
	v_cmp_eq_u32_e32 vcc, 4, v36
	v_mov_b32_dpp v21, v8 quad_perm:[2,3,0,1] row_mask:0xf bank_mask:0xf
	v_mov_b32_dpp v20, v9 quad_perm:[1,2,3,0] row_mask:0xf bank_mask:0xf
	v_cndmask_b32_e32 v29, v29, v10, vcc
	v_cmp_eq_u32_e32 vcc, 5, v36
	s_waitcnt vmcnt(0)
	v_mov_b32_dpp v19, v3 quad_perm:[3,0,1,2] row_mask:0xf bank_mask:0xf
	v_mov_b32_dpp v18, v4 quad_perm:[2,3,0,1] row_mask:0xf bank_mask:0xf
	v_cndmask_b32_e32 v29, v29, v25, vcc
	v_cmp_eq_u32_e32 vcc, 6, v36
	v_mov_b32_dpp v0, v5 quad_perm:[1,2,3,0] row_mask:0xf bank_mask:0xf
	v_and_b32_e32 v48, 64, v32
	v_cndmask_b32_e32 v29, v29, v24, vcc
	v_cmp_eq_u32_e32 vcc, 7, v36
	v_lshrrev_b32_e32 v55, 2, v32
	s_nop 0
	v_cndmask_b32_e32 v29, v29, v23, vcc
	v_cmp_eq_u32_e32 vcc, 8, v36
	s_nop 1
	v_cndmask_b32_e32 v29, v29, v6, vcc
	v_cmp_eq_u32_e32 vcc, 9, v36
	;; [unrolled: 3-line block ×8, first 2 shown]
	s_nop 1
	v_cndmask_b32_e32 v44, v29, v0, vcc
	v_or_b32_e32 v29, 4, v36
	v_cmp_eq_u32_e32 vcc, 1, v29
	s_nop 1
	v_cndmask_b32_e32 v30, v14, v28, vcc
	v_cmp_eq_u32_e32 vcc, 2, v29
	s_nop 1
	v_cndmask_b32_e32 v30, v30, v27, vcc
	;; [unrolled: 3-line block ×15, first 2 shown]
	v_or_b32_e32 v30, 8, v36
	v_cmp_eq_u32_e32 vcc, 1, v30
	s_nop 1
	v_cndmask_b32_e32 v31, v14, v28, vcc
	v_cmp_eq_u32_e32 vcc, 2, v30
	s_nop 1
	v_cndmask_b32_e32 v31, v31, v27, vcc
	;; [unrolled: 3-line block ×15, first 2 shown]
	v_or_b32_e32 v31, 12, v36
	v_cmp_eq_u32_e32 vcc, 1, v31
	v_xor_b32_e32 v36, 2, v36
	v_or_b32_e32 v39, 4, v36
	v_cndmask_b32_e32 v33, v14, v28, vcc
	v_cmp_eq_u32_e32 vcc, 2, v31
	s_nop 1
	v_cndmask_b32_e32 v33, v33, v27, vcc
	v_cmp_eq_u32_e32 vcc, 3, v31
	s_nop 1
	;; [unrolled: 3-line block ×14, first 2 shown]
	v_cndmask_b32_e32 v31, v33, v0, vcc
	v_add_u32_e32 v33, -1, v32
	v_and_b32_e32 v37, 3, v33
	v_cmp_eq_u32_e32 vcc, 1, v37
	v_or_b32_e32 v34, 4, v37
	s_nop 0
	v_cndmask_b32_e32 v33, v14, v28, vcc
	v_cmp_eq_u32_e32 vcc, 2, v37
	s_nop 1
	v_cndmask_b32_e32 v33, v33, v27, vcc
	v_cmp_eq_u32_e32 vcc, 3, v37
	;; [unrolled: 3-line block ×29, first 2 shown]
	s_nop 1
	v_cndmask_b32_e32 v34, v35, v0, vcc
	v_or_b32_e32 v35, 8, v37
	v_cmp_eq_u32_e32 vcc, 1, v35
	v_or_b32_e32 v37, 12, v37
	s_nop 0
	v_cndmask_b32_e32 v38, v14, v28, vcc
	v_cmp_eq_u32_e32 vcc, 2, v35
	s_nop 1
	v_cndmask_b32_e32 v38, v38, v27, vcc
	v_cmp_eq_u32_e32 vcc, 3, v35
	s_nop 1
	v_cndmask_b32_e32 v38, v38, v26, vcc
	v_cmp_eq_u32_e32 vcc, 4, v35
	s_nop 1
	v_cndmask_b32_e32 v38, v38, v10, vcc
	v_cmp_eq_u32_e32 vcc, 5, v35
	s_nop 1
	v_cndmask_b32_e32 v38, v38, v25, vcc
	v_cmp_eq_u32_e32 vcc, 6, v35
	s_nop 1
	v_cndmask_b32_e32 v38, v38, v24, vcc
	v_cmp_eq_u32_e32 vcc, 7, v35
	s_nop 1
	v_cndmask_b32_e32 v38, v38, v23, vcc
	v_cmp_eq_u32_e32 vcc, 8, v35
	s_nop 1
	v_cndmask_b32_e32 v38, v38, v6, vcc
	v_cmp_eq_u32_e32 vcc, 9, v35
	s_nop 1
	v_cndmask_b32_e32 v38, v38, v22, vcc
	v_cmp_eq_u32_e32 vcc, 10, v35
	s_nop 1
	v_cndmask_b32_e32 v38, v38, v21, vcc
	v_cmp_eq_u32_e32 vcc, 11, v35
	s_nop 1
	v_cndmask_b32_e32 v38, v38, v20, vcc
	v_cmp_eq_u32_e32 vcc, 12, v35
	s_nop 1
	v_cndmask_b32_e32 v38, v38, v2, vcc
	v_cmp_eq_u32_e32 vcc, 13, v35
	s_nop 1
	v_cndmask_b32_e32 v38, v38, v19, vcc
	v_cmp_eq_u32_e32 vcc, 14, v35
	s_nop 1
	v_cndmask_b32_e32 v38, v38, v18, vcc
	v_cmp_eq_u32_e32 vcc, 15, v35
	s_nop 1
	v_cndmask_b32_e32 v35, v38, v0, vcc
	v_cmp_eq_u32_e32 vcc, 1, v37
	s_nop 1
	v_cndmask_b32_e32 v38, v14, v28, vcc
	v_cmp_eq_u32_e32 vcc, 2, v37
	s_nop 1
	v_cndmask_b32_e32 v38, v38, v27, vcc
	v_cmp_eq_u32_e32 vcc, 3, v37
	s_nop 1
	v_cndmask_b32_e32 v38, v38, v26, vcc
	v_cmp_eq_u32_e32 vcc, 4, v37
	s_nop 1
	v_cndmask_b32_e32 v38, v38, v10, vcc
	v_cmp_eq_u32_e32 vcc, 5, v37
	s_nop 1
	v_cndmask_b32_e32 v38, v38, v25, vcc
	v_cmp_eq_u32_e32 vcc, 6, v37
	s_nop 1
	v_cndmask_b32_e32 v38, v38, v24, vcc
	v_cmp_eq_u32_e32 vcc, 7, v37
	s_nop 1
	v_cndmask_b32_e32 v38, v38, v23, vcc
	v_cmp_eq_u32_e32 vcc, 8, v37
	s_nop 1
	v_cndmask_b32_e32 v38, v38, v6, vcc
	v_cmp_eq_u32_e32 vcc, 9, v37
	s_nop 1
	v_cndmask_b32_e32 v38, v38, v22, vcc
	v_cmp_eq_u32_e32 vcc, 10, v37
	s_nop 1
	v_cndmask_b32_e32 v38, v38, v21, vcc
	v_cmp_eq_u32_e32 vcc, 11, v37
	s_nop 1
	v_cndmask_b32_e32 v38, v38, v20, vcc
	v_cmp_eq_u32_e32 vcc, 12, v37
	s_nop 1
	v_cndmask_b32_e32 v38, v38, v2, vcc
	v_cmp_eq_u32_e32 vcc, 13, v37
	s_nop 1
	v_cndmask_b32_e32 v38, v38, v19, vcc
	v_cmp_eq_u32_e32 vcc, 14, v37
	s_nop 1
	v_cndmask_b32_e32 v38, v38, v18, vcc
	v_cmp_eq_u32_e32 vcc, 15, v37
	s_nop 1
	v_cndmask_b32_e32 v37, v38, v0, vcc
	v_cmp_eq_u32_e32 vcc, 1, v36
	s_nop 1
	v_cndmask_b32_e32 v38, v14, v28, vcc
	v_cmp_eq_u32_e32 vcc, 2, v36
	s_nop 1
	v_cndmask_b32_e32 v38, v38, v27, vcc
	v_cmp_eq_u32_e32 vcc, 3, v36
	s_nop 1
	v_cndmask_b32_e32 v38, v38, v26, vcc
	v_cmp_eq_u32_e32 vcc, 4, v36
	s_nop 1
	v_cndmask_b32_e32 v38, v38, v10, vcc
	v_cmp_eq_u32_e32 vcc, 5, v36
	s_nop 1
	v_cndmask_b32_e32 v38, v38, v25, vcc
	v_cmp_eq_u32_e32 vcc, 6, v36
	s_nop 1
	v_cndmask_b32_e32 v38, v38, v24, vcc
	v_cmp_eq_u32_e32 vcc, 7, v36
	s_nop 1
	v_cndmask_b32_e32 v38, v38, v23, vcc
	v_cmp_eq_u32_e32 vcc, 8, v36
	s_nop 1
	v_cndmask_b32_e32 v38, v38, v6, vcc
	v_cmp_eq_u32_e32 vcc, 9, v36
	s_nop 1
	v_cndmask_b32_e32 v38, v38, v22, vcc
	v_cmp_eq_u32_e32 vcc, 10, v36
	s_nop 1
	v_cndmask_b32_e32 v38, v38, v21, vcc
	v_cmp_eq_u32_e32 vcc, 11, v36
	s_nop 1
	v_cndmask_b32_e32 v38, v38, v20, vcc
	v_cmp_eq_u32_e32 vcc, 12, v36
	s_nop 1
	v_cndmask_b32_e32 v38, v38, v2, vcc
	v_cmp_eq_u32_e32 vcc, 13, v36
	s_nop 1
	v_cndmask_b32_e32 v38, v38, v19, vcc
	v_cmp_eq_u32_e32 vcc, 14, v36
	s_nop 1
	v_cndmask_b32_e32 v38, v38, v18, vcc
	v_cmp_eq_u32_e32 vcc, 15, v36
	s_nop 1
	v_cndmask_b32_e32 v38, v38, v0, vcc
	v_cmp_eq_u32_e32 vcc, 1, v39
	s_nop 1
	v_cndmask_b32_e32 v40, v14, v28, vcc
	v_cmp_eq_u32_e32 vcc, 2, v39
	s_nop 1
	v_cndmask_b32_e32 v40, v40, v27, vcc
	v_cmp_eq_u32_e32 vcc, 3, v39
	s_nop 1
	v_cndmask_b32_e32 v40, v40, v26, vcc
	v_cmp_eq_u32_e32 vcc, 4, v39
	s_nop 1
	v_cndmask_b32_e32 v40, v40, v10, vcc
	v_cmp_eq_u32_e32 vcc, 5, v39
	s_nop 1
	v_cndmask_b32_e32 v40, v40, v25, vcc
	v_cmp_eq_u32_e32 vcc, 6, v39
	s_nop 1
	v_cndmask_b32_e32 v40, v40, v24, vcc
	v_cmp_eq_u32_e32 vcc, 7, v39
	s_nop 1
	v_cndmask_b32_e32 v40, v40, v23, vcc
	v_cmp_eq_u32_e32 vcc, 8, v39
	s_nop 1
	v_cndmask_b32_e32 v40, v40, v6, vcc
	v_cmp_eq_u32_e32 vcc, 9, v39
	s_nop 1
	v_cndmask_b32_e32 v40, v40, v22, vcc
	v_cmp_eq_u32_e32 vcc, 10, v39
	s_nop 1
	v_cndmask_b32_e32 v40, v40, v21, vcc
	v_cmp_eq_u32_e32 vcc, 11, v39
	s_nop 1
	v_cndmask_b32_e32 v40, v40, v20, vcc
	v_cmp_eq_u32_e32 vcc, 12, v39
	s_nop 1
	v_cndmask_b32_e32 v40, v40, v2, vcc
	v_cmp_eq_u32_e32 vcc, 13, v39
	s_nop 1
	v_cndmask_b32_e32 v40, v40, v19, vcc
	v_cmp_eq_u32_e32 vcc, 14, v39
	s_nop 1
	v_cndmask_b32_e32 v40, v40, v18, vcc
	v_cmp_eq_u32_e32 vcc, 15, v39
	s_nop 1
	v_cndmask_b32_e32 v39, v40, v0, vcc
	v_or_b32_e32 v40, 8, v36
	v_cmp_eq_u32_e32 vcc, 1, v40
	s_nop 1
	v_cndmask_b32_e32 v41, v14, v28, vcc
	v_cmp_eq_u32_e32 vcc, 2, v40
	s_nop 1
	v_cndmask_b32_e32 v41, v41, v27, vcc
	;; [unrolled: 3-line block ×15, first 2 shown]
	v_or_b32_e32 v41, 12, v36
	v_cmp_eq_u32_e32 vcc, 1, v41
	v_add_u32_e32 v36, 3, v36
	v_or_b32_e32 v45, 4, v36
	v_cndmask_b32_e32 v42, v14, v28, vcc
	v_cmp_eq_u32_e32 vcc, 2, v41
	s_nop 1
	v_cndmask_b32_e32 v42, v42, v27, vcc
	v_cmp_eq_u32_e32 vcc, 3, v41
	s_nop 1
	;; [unrolled: 3-line block ×14, first 2 shown]
	v_cndmask_b32_e32 v41, v42, v0, vcc
	v_and_b32_e32 v42, 3, v36
	v_cmp_eq_u32_e32 vcc, 1, v42
	v_or_b32_e32 v36, 12, v36
	s_nop 0
	v_cndmask_b32_e32 v43, v14, v28, vcc
	v_cmp_eq_u32_e32 vcc, 2, v42
	s_nop 1
	v_cndmask_b32_e32 v43, v43, v27, vcc
	v_cmp_eq_u32_e32 vcc, 3, v42
	;; [unrolled: 3-line block ×14, first 2 shown]
	v_or_b32_e32 v42, 8, v42
	s_nop 0
	v_cndmask_b32_e32 v43, v43, v0, vcc
	v_cmp_eq_u32_e32 vcc, 1, v45
	s_nop 1
	v_cndmask_b32_e32 v46, v14, v28, vcc
	v_cmp_eq_u32_e32 vcc, 2, v45
	;; [unrolled: 3-line block ×33, first 2 shown]
	v_mov_b32_dpp v28, v39 quad_perm:[2,3,0,1] row_mask:0xf bank_mask:0xf
	s_nop 0
	v_cndmask_b32_e32 v26, v27, v26, vcc
	v_cmp_eq_u32_e32 vcc, 4, v36
	v_mov_b32_dpp v27, v38 quad_perm:[2,3,0,1] row_mask:0xf bank_mask:0xf
	s_nop 0
	v_cndmask_b32_e32 v26, v26, v10, vcc
	v_cmp_eq_u32_e32 vcc, 5, v36
	s_nop 1
	v_cndmask_b32_e32 v25, v26, v25, vcc
	v_cmp_eq_u32_e32 vcc, 6, v36
	v_mov_b32_dpp v26, v37 quad_perm:[1,2,3,0] row_mask:0xf bank_mask:0xf
	s_nop 0
	v_cndmask_b32_e32 v24, v25, v24, vcc
	v_cmp_eq_u32_e32 vcc, 7, v36
	s_nop 1
	v_cndmask_b32_e32 v23, v24, v23, vcc
	v_cmp_eq_u32_e32 vcc, 8, v36
	;; [unrolled: 3-line block ×4, first 2 shown]
	v_mov_b32_dpp v23, v35 quad_perm:[1,2,3,0] row_mask:0xf bank_mask:0xf
	v_mov_b32_dpp v35, v43 quad_perm:[3,0,1,2] row_mask:0xf bank_mask:0xf
	v_cndmask_b32_e32 v21, v22, v21, vcc
	v_cmp_eq_u32_e32 vcc, 11, v36
	v_mov_b32_dpp v22, v34 quad_perm:[1,2,3,0] row_mask:0xf bank_mask:0xf
	v_mov_b32_dpp v34, v41 quad_perm:[2,3,0,1] row_mask:0xf bank_mask:0xf
	v_cndmask_b32_e32 v20, v21, v20, vcc
	v_cmp_eq_u32_e32 vcc, 12, v36
	s_nop 1
	v_cndmask_b32_e32 v20, v20, v2, vcc
	v_cmp_eq_u32_e32 vcc, 13, v36
	s_nop 1
	;; [unrolled: 3-line block ×3, first 2 shown]
	v_cndmask_b32_e32 v18, v19, v18, vcc
	v_add_u32_e32 v19, 56, v32
	v_and_or_b32 v19, v19, 63, v48
	v_lshlrev_b32_e32 v21, 2, v19
	v_add_u32_e32 v19, 52, v32
	v_and_or_b32 v19, v19, 63, v48
	v_lshlrev_b32_e32 v20, 2, v19
	v_add_u32_e32 v19, 48, v32
	v_cmp_eq_u32_e32 vcc, 15, v36
	v_and_or_b32 v19, v19, 63, v48
	v_lshlrev_b32_e32 v19, 2, v19
	v_cndmask_b32_e32 v0, v18, v0, vcc
	v_mov_b32_dpp v18, v33 quad_perm:[1,2,3,0] row_mask:0xf bank_mask:0xf
	ds_bpermute_b32 v49, v19, v18
	v_add_u32_e32 v18, 44, v32
	v_and_or_b32 v18, v18, 63, v48
	v_lshlrev_b32_e32 v18, 2, v18
	ds_bpermute_b32 v47, v18, v22
	v_add_u32_e32 v22, 40, v32
	v_and_or_b32 v22, v22, 63, v48
	v_lshlrev_b32_e32 v25, 2, v22
	v_add_u32_e32 v22, 36, v32
	v_and_or_b32 v22, v22, 63, v48
	v_mov_b32_dpp v46, v0 quad_perm:[3,0,1,2] row_mask:0xf bank_mask:0xf
	v_add_u32_e32 v0, 60, v32
	v_lshlrev_b32_e32 v24, 2, v22
	v_mov_b32_dpp v36, v45 quad_perm:[3,0,1,2] row_mask:0xf bank_mask:0xf
	v_mov_b32_dpp v45, v42 quad_perm:[3,0,1,2] row_mask:0xf bank_mask:0xf
	v_and_or_b32 v0, v0, 63, v48
	ds_bpermute_b32 v42, v24, v26
	v_lshlrev_b32_e32 v22, 2, v32
	v_add_u32_e32 v26, 24, v32
	v_lshlrev_b32_e32 v0, 2, v0
	ds_bpermute_b32 v43, v25, v23
	v_xor_b32_e32 v23, 0x80, v22
	v_add_u32_e32 v22, 28, v32
	v_and_or_b32 v26, v26, 63, v48
	ds_bpermute_b32 v56, v0, v29
	v_and_or_b32 v22, v22, 63, v48
	v_lshlrev_b32_e32 v29, 2, v26
	v_add_u32_e32 v26, 20, v32
	v_lshlrev_b32_e32 v22, 2, v22
	v_and_or_b32 v26, v26, 63, v48
	v_mov_b32_dpp v33, v40 quad_perm:[2,3,0,1] row_mask:0xf bank_mask:0xf
	ds_bpermute_b32 v40, v22, v28
	v_lshlrev_b32_e32 v28, 2, v26
	v_add_u32_e32 v26, 16, v32
	v_and_or_b32 v26, v26, 63, v48
	ds_bpermute_b32 v51, v20, v31
	ds_bpermute_b32 v41, v23, v27
	v_lshlrev_b32_e32 v27, 2, v26
	v_add_u32_e32 v26, 12, v32
	v_add_u32_e32 v31, 8, v32
	ds_bpermute_b32 v38, v28, v34
	v_and_or_b32 v26, v26, 63, v48
	v_and_or_b32 v31, v31, 63, v48
	v_add_u32_e32 v34, 4, v32
	ds_bpermute_b32 v53, v21, v30
	v_lshlrev_b32_e32 v26, 2, v26
	v_lshlrev_b32_e32 v31, 2, v31
	v_and_or_b32 v34, v34, 63, v48
	ds_bpermute_b32 v39, v29, v33
	ds_bpermute_b32 v30, v26, v36
	;; [unrolled: 1-line block ×3, first 2 shown]
	v_lshlrev_b32_e32 v36, 2, v34
	v_add_u32_e32 v45, -1, v55
	ds_bpermute_b32 v34, v36, v46
	v_and_b32_e32 v46, 15, v45
	v_cmp_eq_u32_e32 vcc, 1, v46
	ds_bpermute_b32 v37, v27, v35
	v_bfe_u32 v35, v32, 2, 4
	s_waitcnt lgkmcnt(10)
	v_cndmask_b32_e32 v45, v44, v56, vcc
	v_cmp_eq_u32_e32 vcc, 2, v46
	v_xor_b32_e32 v62, 8, v35
	v_cmp_eq_u32_e64 s[24:25], 1, v62
	s_waitcnt lgkmcnt(5)
	v_cndmask_b32_e32 v45, v45, v53, vcc
	v_cmp_eq_u32_e32 vcc, 3, v46
	v_cmp_eq_u32_e64 s[28:29], 1, v35
	s_nop 0
	v_cndmask_b32_e32 v45, v45, v51, vcc
	v_cmp_eq_u32_e32 vcc, 4, v46
	v_cndmask_b32_e64 v65, v44, v56, s[28:29]
	s_nop 0
	v_cndmask_b32_e32 v45, v45, v49, vcc
	v_cmp_eq_u32_e32 vcc, 5, v46
	s_nop 1
	v_cndmask_b32_e32 v45, v45, v47, vcc
	v_cmp_eq_u32_e32 vcc, 6, v46
	;; [unrolled: 3-line block ×6, first 2 shown]
	s_waitcnt lgkmcnt(4)
	s_nop 0
	v_cndmask_b32_e32 v45, v45, v39, vcc
	v_cmp_eq_u32_e32 vcc, 11, v46
	s_nop 1
	v_cndmask_b32_e32 v45, v45, v38, vcc
	v_cmp_eq_u32_e32 vcc, 12, v46
	s_waitcnt lgkmcnt(0)
	s_nop 0
	v_cndmask_b32_e32 v45, v45, v37, vcc
	v_cmp_eq_u32_e32 vcc, 13, v46
	s_nop 1
	v_cndmask_b32_e32 v45, v45, v30, vcc
	v_cmp_eq_u32_e32 vcc, 14, v46
	;; [unrolled: 3-line block ×3, first 2 shown]
	v_add_u32_e32 v46, 14, v55
	v_and_b32_e32 v48, 15, v46
	v_cmp_eq_u32_e64 s[0:1], 1, v48
	v_cndmask_b32_e32 v45, v45, v34, vcc
	s_nop 0
	v_cndmask_b32_e64 v46, v44, v56, s[0:1]
	v_cmp_eq_u32_e64 s[0:1], 2, v48
	s_nop 1
	v_cndmask_b32_e64 v46, v46, v53, s[0:1]
	v_cmp_eq_u32_e64 s[0:1], 3, v48
	;; [unrolled: 3-line block ×14, first 2 shown]
	v_add_u32_e32 v48, 13, v55
	v_and_b32_e32 v50, 15, v48
	v_cmp_eq_u32_e64 s[2:3], 1, v50
	v_cndmask_b32_e64 v46, v46, v34, s[0:1]
	ds_bpermute_b32 v31, v31, v46
	v_cndmask_b32_e64 v48, v44, v56, s[2:3]
	v_cmp_eq_u32_e64 s[2:3], 2, v50
	s_nop 1
	v_cndmask_b32_e64 v48, v48, v53, s[2:3]
	v_cmp_eq_u32_e64 s[2:3], 3, v50
	s_nop 1
	v_cndmask_b32_e64 v48, v48, v51, s[2:3]
	v_cmp_eq_u32_e64 s[2:3], 4, v50
	s_nop 1
	v_cndmask_b32_e64 v48, v48, v49, s[2:3]
	v_cmp_eq_u32_e64 s[2:3], 5, v50
	s_nop 1
	v_cndmask_b32_e64 v48, v48, v47, s[2:3]
	v_cmp_eq_u32_e64 s[2:3], 6, v50
	s_nop 1
	v_cndmask_b32_e64 v48, v48, v43, s[2:3]
	v_cmp_eq_u32_e64 s[2:3], 7, v50
	s_nop 1
	v_cndmask_b32_e64 v48, v48, v42, s[2:3]
	v_cmp_eq_u32_e64 s[2:3], 8, v50
	s_nop 1
	v_cndmask_b32_e64 v48, v48, v41, s[2:3]
	v_cmp_eq_u32_e64 s[2:3], 9, v50
	s_nop 1
	v_cndmask_b32_e64 v48, v48, v40, s[2:3]
	v_cmp_eq_u32_e64 s[2:3], 10, v50
	s_nop 1
	v_cndmask_b32_e64 v48, v48, v39, s[2:3]
	v_cmp_eq_u32_e64 s[2:3], 11, v50
	s_nop 1
	v_cndmask_b32_e64 v48, v48, v38, s[2:3]
	v_cmp_eq_u32_e64 s[2:3], 12, v50
	s_nop 1
	v_cndmask_b32_e64 v48, v48, v37, s[2:3]
	v_cmp_eq_u32_e64 s[2:3], 13, v50
	s_nop 1
	v_cndmask_b32_e64 v48, v48, v30, s[2:3]
	v_cmp_eq_u32_e64 s[2:3], 14, v50
	s_nop 1
	v_cndmask_b32_e64 v48, v48, v33, s[2:3]
	v_cmp_eq_u32_e64 s[2:3], 15, v50
	v_add_u32_e32 v50, 12, v55
	v_and_b32_e32 v52, 15, v50
	v_cmp_eq_u32_e64 s[4:5], 1, v52
	v_cndmask_b32_e64 v48, v48, v34, s[2:3]
	ds_bpermute_b32 v26, v26, v48
	v_cndmask_b32_e64 v50, v44, v56, s[4:5]
	v_cmp_eq_u32_e64 s[4:5], 2, v52
	s_nop 1
	v_cndmask_b32_e64 v50, v50, v53, s[4:5]
	v_cmp_eq_u32_e64 s[4:5], 3, v52
	s_nop 1
	;; [unrolled: 3-line block ×13, first 2 shown]
	v_cndmask_b32_e64 v50, v50, v33, s[4:5]
	v_cmp_eq_u32_e64 s[4:5], 15, v52
	v_add_u32_e32 v52, 11, v55
	v_and_b32_e32 v54, 15, v52
	v_cmp_eq_u32_e64 s[6:7], 1, v54
	s_nop 1
	v_cndmask_b32_e64 v52, v44, v56, s[6:7]
	v_cmp_eq_u32_e64 s[6:7], 2, v54
	s_nop 1
	v_cndmask_b32_e64 v52, v52, v53, s[6:7]
	;; [unrolled: 3-line block ×14, first 2 shown]
	v_cmp_eq_u32_e64 s[6:7], 15, v54
	v_add_u32_e32 v54, 10, v55
	v_and_b32_e32 v57, 15, v54
	v_cmp_eq_u32_e64 s[8:9], 1, v57
	v_add_u32_e32 v55, 9, v55
	s_nop 0
	v_cndmask_b32_e64 v54, v44, v56, s[8:9]
	v_cmp_eq_u32_e64 s[8:9], 2, v57
	s_nop 1
	v_cndmask_b32_e64 v54, v54, v53, s[8:9]
	v_cmp_eq_u32_e64 s[8:9], 3, v57
	;; [unrolled: 3-line block ×14, first 2 shown]
	v_and_b32_e32 v57, 15, v55
	v_cmp_eq_u32_e64 s[10:11], 1, v57
	s_nop 1
	v_cndmask_b32_e64 v55, v44, v56, s[10:11]
	v_cmp_eq_u32_e64 s[10:11], 2, v57
	s_nop 1
	v_cndmask_b32_e64 v55, v55, v53, s[10:11]
	;; [unrolled: 3-line block ×14, first 2 shown]
	v_cmp_eq_u32_e64 s[10:11], 15, v57
	v_add_u32_e32 v57, -1, v62
	v_and_b32_e32 v58, 15, v57
	v_cmp_eq_u32_e64 s[12:13], 1, v58
	s_nop 1
	v_cndmask_b32_e64 v57, v44, v56, s[12:13]
	v_cmp_eq_u32_e64 s[12:13], 2, v58
	s_nop 1
	v_cndmask_b32_e64 v57, v57, v53, s[12:13]
	v_cmp_eq_u32_e64 s[12:13], 3, v58
	s_nop 1
	v_cndmask_b32_e64 v57, v57, v51, s[12:13]
	v_cmp_eq_u32_e64 s[12:13], 4, v58
	s_nop 1
	v_cndmask_b32_e64 v57, v57, v49, s[12:13]
	v_cmp_eq_u32_e64 s[12:13], 5, v58
	s_nop 1
	v_cndmask_b32_e64 v57, v57, v47, s[12:13]
	v_cmp_eq_u32_e64 s[12:13], 6, v58
	s_nop 1
	v_cndmask_b32_e64 v57, v57, v43, s[12:13]
	v_cmp_eq_u32_e64 s[12:13], 7, v58
	s_nop 1
	v_cndmask_b32_e64 v57, v57, v42, s[12:13]
	v_cmp_eq_u32_e64 s[12:13], 8, v58
	s_nop 1
	v_cndmask_b32_e64 v57, v57, v41, s[12:13]
	v_cmp_eq_u32_e64 s[12:13], 9, v58
	s_nop 1
	v_cndmask_b32_e64 v57, v57, v40, s[12:13]
	v_cmp_eq_u32_e64 s[12:13], 10, v58
	s_nop 1
	v_cndmask_b32_e64 v57, v57, v39, s[12:13]
	v_cmp_eq_u32_e64 s[12:13], 11, v58
	s_nop 1
	v_cndmask_b32_e64 v57, v57, v38, s[12:13]
	v_cmp_eq_u32_e64 s[12:13], 12, v58
	s_nop 1
	v_cndmask_b32_e64 v57, v57, v37, s[12:13]
	v_cmp_eq_u32_e64 s[12:13], 13, v58
	s_nop 1
	v_cndmask_b32_e64 v57, v57, v30, s[12:13]
	v_cmp_eq_u32_e64 s[12:13], 14, v58
	s_nop 1
	v_cndmask_b32_e64 v57, v57, v33, s[12:13]
	v_cmp_eq_u32_e64 s[12:13], 15, v58
	v_add_u32_e32 v58, 14, v62
	v_and_b32_e32 v59, 15, v58
	v_cmp_eq_u32_e64 s[14:15], 1, v59
	s_nop 1
	v_cndmask_b32_e64 v58, v44, v56, s[14:15]
	v_cmp_eq_u32_e64 s[14:15], 2, v59
	s_nop 1
	v_cndmask_b32_e64 v58, v58, v53, s[14:15]
	v_cmp_eq_u32_e64 s[14:15], 3, v59
	s_nop 1
	v_cndmask_b32_e64 v58, v58, v51, s[14:15]
	v_cmp_eq_u32_e64 s[14:15], 4, v59
	s_nop 1
	v_cndmask_b32_e64 v58, v58, v49, s[14:15]
	v_cmp_eq_u32_e64 s[14:15], 5, v59
	s_nop 1
	v_cndmask_b32_e64 v58, v58, v47, s[14:15]
	v_cmp_eq_u32_e64 s[14:15], 6, v59
	s_nop 1
	v_cndmask_b32_e64 v58, v58, v43, s[14:15]
	v_cmp_eq_u32_e64 s[14:15], 7, v59
	s_nop 1
	v_cndmask_b32_e64 v58, v58, v42, s[14:15]
	v_cmp_eq_u32_e64 s[14:15], 8, v59
	s_nop 1
	v_cndmask_b32_e64 v58, v58, v41, s[14:15]
	v_cmp_eq_u32_e64 s[14:15], 9, v59
	s_nop 1
	v_cndmask_b32_e64 v58, v58, v40, s[14:15]
	v_cmp_eq_u32_e64 s[14:15], 10, v59
	s_nop 1
	v_cndmask_b32_e64 v58, v58, v39, s[14:15]
	v_cmp_eq_u32_e64 s[14:15], 11, v59
	s_nop 1
	v_cndmask_b32_e64 v58, v58, v38, s[14:15]
	v_cmp_eq_u32_e64 s[14:15], 12, v59
	s_nop 1
	v_cndmask_b32_e64 v58, v58, v37, s[14:15]
	v_cmp_eq_u32_e64 s[14:15], 13, v59
	s_nop 1
	v_cndmask_b32_e64 v58, v58, v30, s[14:15]
	v_cmp_eq_u32_e64 s[14:15], 14, v59
	s_nop 1
	v_cndmask_b32_e64 v58, v58, v33, s[14:15]
	v_cmp_eq_u32_e64 s[14:15], 15, v59
	v_add_u32_e32 v59, 13, v62
	;; [unrolled: 45-line block ×5, first 2 shown]
	v_and_b32_e32 v64, 15, v63
	v_cmp_eq_u32_e64 s[22:23], 1, v64
	s_nop 1
	v_cndmask_b32_e64 v63, v44, v56, s[22:23]
	v_cmp_eq_u32_e64 s[22:23], 2, v64
	s_nop 1
	v_cndmask_b32_e64 v63, v63, v53, s[22:23]
	;; [unrolled: 3-line block ×14, first 2 shown]
	v_cmp_eq_u32_e64 s[22:23], 15, v64
	v_cndmask_b32_e64 v64, v44, v56, s[24:25]
	v_cmp_eq_u32_e64 s[24:25], 2, v62
	s_nop 1
	v_cndmask_b32_e64 v64, v64, v53, s[24:25]
	v_cmp_eq_u32_e64 s[24:25], 3, v62
	s_nop 1
	;; [unrolled: 3-line block ×13, first 2 shown]
	v_cndmask_b32_e64 v64, v64, v33, s[24:25]
	v_cmp_eq_u32_e64 s[24:25], 15, v62
	v_add_u32_e32 v62, 9, v62
	v_and_b32_e32 v62, 15, v62
	v_cmp_eq_u32_e64 s[26:27], 1, v62
	v_cmp_eq_u32_e32 vcc, 6, v62
	s_nop 0
	v_cndmask_b32_e64 v44, v44, v56, s[26:27]
	v_cmp_eq_u32_e64 s[26:27], 2, v35
	s_nop 1
	v_cndmask_b32_e64 v56, v65, v53, s[26:27]
	v_cmp_eq_u32_e64 s[26:27], 2, v62
	s_nop 1
	v_cndmask_b32_e64 v44, v44, v53, s[26:27]
	v_cmp_eq_u32_e64 s[26:27], 3, v35
	s_nop 1
	v_cndmask_b32_e64 v53, v56, v51, s[26:27]
	v_cmp_eq_u32_e64 s[26:27], 3, v62
	v_cndmask_b32_e64 v56, v59, v34, s[16:17]
	v_cndmask_b32_e64 v59, v63, v34, s[22:23]
	;; [unrolled: 1-line block ×3, first 2 shown]
	v_cmp_eq_u32_e64 s[26:27], 4, v35
	ds_bpermute_b32 v18, v18, v56
	ds_bpermute_b32 v21, v21, v59
	v_cndmask_b32_e64 v51, v53, v49, s[26:27]
	v_cmp_eq_u32_e64 s[26:27], 4, v62
	v_cndmask_b32_e64 v53, v64, v34, s[24:25]
	ds_bpermute_b32 v23, v23, v53
	v_cndmask_b32_e64 v44, v44, v49, s[26:27]
	v_cmp_eq_u32_e64 s[26:27], 5, v35
	s_nop 1
	v_cndmask_b32_e64 v49, v51, v47, s[26:27]
	v_cmp_eq_u32_e64 s[26:27], 5, v62
	v_cndmask_b32_e64 v51, v54, v34, s[8:9]
	v_cndmask_b32_e64 v54, v57, v34, s[12:13]
	;; [unrolled: 1-line block ×3, first 2 shown]
	v_cmp_eq_u32_e64 s[26:27], 6, v35
	v_cndmask_b32_e64 v57, v60, v34, s[18:19]
	ds_bpermute_b32 v29, v29, v51
	v_cndmask_b32_e64 v47, v49, v43, s[26:27]
	v_cmp_eq_u32_e64 s[26:27], 7, v35
	v_cndmask_b32_e32 v43, v44, v43, vcc
	v_cmp_eq_u32_e32 vcc, 7, v62
	v_cndmask_b32_e64 v47, v47, v42, s[26:27]
	v_cmp_eq_u32_e64 s[26:27], 8, v35
	v_cndmask_b32_e32 v42, v43, v42, vcc
	v_cmp_eq_u32_e32 vcc, 8, v62
	;; [unrolled: 4-line block ×7, first 2 shown]
	v_cndmask_b32_e64 v47, v47, v30, s[26:27]
	v_cndmask_b32_e64 v49, v50, v34, s[4:5]
	v_cndmask_b32_e32 v30, v37, v30, vcc
	v_cmp_eq_u32_e32 vcc, 14, v62
	v_cndmask_b32_e64 v50, v52, v34, s[6:7]
	v_cndmask_b32_e64 v52, v55, v34, s[10:11]
	v_cndmask_b32_e32 v30, v30, v33, vcc
	v_cmp_eq_u32_e32 vcc, 15, v62
	;; [unrolled: 4-line block ×3, first 2 shown]
	ds_bpermute_b32 v30, v36, v45
	ds_bpermute_b32 v36, v0, v37
	v_cndmask_b32_e32 v0, v47, v33, vcc
	v_cmp_eq_u32_e32 vcc, 15, v35
	ds_bpermute_b32 v27, v27, v49
	ds_bpermute_b32 v28, v28, v50
	;; [unrolled: 1-line block ×7, first 2 shown]
	v_cndmask_b32_e32 v0, v0, v34, vcc
	s_cbranch_execz .LBB33_3
	s_branch .LBB33_4
.LBB33_2:
                                        ; implicit-def: $vgpr36
                                        ; implicit-def: $vgpr0
                                        ; implicit-def: $vgpr20_vgpr21
                                        ; implicit-def: $vgpr24_vgpr25
                                        ; implicit-def: $vgpr28_vgpr29
                                        ; implicit-def: $vgpr30_vgpr31
.LBB33_3:
	s_waitcnt lgkmcnt(3)
	v_and_b32_e32 v24, 3, v32
	s_waitcnt vmcnt(3) lgkmcnt(1)
	v_mov_b32_dpp v19, v15 quad_perm:[3,0,1,2] row_mask:0xf bank_mask:0xf
	v_cmp_eq_u32_e32 vcc, 1, v24
	v_mov_b32_dpp v18, v16 quad_perm:[2,3,0,1] row_mask:0xf bank_mask:0xf
	v_mov_b32_dpp v17, v17 quad_perm:[1,2,3,0] row_mask:0xf bank_mask:0xf
	v_cndmask_b32_e32 v0, v14, v19, vcc
	v_cmp_eq_u32_e32 vcc, 2, v24
	s_waitcnt vmcnt(2)
	v_mov_b32_dpp v16, v11 quad_perm:[3,0,1,2] row_mask:0xf bank_mask:0xf
	v_mov_b32_dpp v15, v12 quad_perm:[2,3,0,1] row_mask:0xf bank_mask:0xf
	v_cndmask_b32_e32 v0, v0, v18, vcc
	v_cmp_eq_u32_e32 vcc, 3, v24
	v_mov_b32_dpp v13, v13 quad_perm:[1,2,3,0] row_mask:0xf bank_mask:0xf
	s_waitcnt vmcnt(1)
	v_mov_b32_dpp v12, v7 quad_perm:[3,0,1,2] row_mask:0xf bank_mask:0xf
	v_cndmask_b32_e32 v0, v0, v17, vcc
	v_cmp_eq_u32_e32 vcc, 4, v24
	v_mov_b32_dpp v11, v8 quad_perm:[2,3,0,1] row_mask:0xf bank_mask:0xf
	v_mov_b32_dpp v8, v9 quad_perm:[1,2,3,0] row_mask:0xf bank_mask:0xf
	v_cndmask_b32_e32 v0, v0, v10, vcc
	v_cmp_eq_u32_e32 vcc, 5, v24
	s_waitcnt vmcnt(0)
	v_mov_b32_dpp v7, v3 quad_perm:[3,0,1,2] row_mask:0xf bank_mask:0xf
	v_mov_b32_dpp v4, v4 quad_perm:[2,3,0,1] row_mask:0xf bank_mask:0xf
	v_cndmask_b32_e32 v0, v0, v16, vcc
	v_cmp_eq_u32_e32 vcc, 6, v24
	v_mov_b32_dpp v3, v5 quad_perm:[1,2,3,0] row_mask:0xf bank_mask:0xf
	v_or_b32_e32 v5, 4, v24
	v_cndmask_b32_e32 v0, v0, v15, vcc
	v_cmp_eq_u32_e32 vcc, 7, v24
	v_lshrrev_b32_e32 v40, 2, v32
	s_nop 0
	v_cndmask_b32_e32 v0, v0, v13, vcc
	v_cmp_eq_u32_e32 vcc, 8, v24
	s_nop 1
	v_cndmask_b32_e32 v0, v0, v6, vcc
	v_cmp_eq_u32_e32 vcc, 9, v24
	;; [unrolled: 3-line block ×23, first 2 shown]
	s_nop 1
	v_cndmask_b32_e32 v5, v9, v3, vcc
	v_or_b32_e32 v9, 8, v24
	v_cmp_eq_u32_e32 vcc, 1, v9
	s_waitcnt lgkmcnt(0)
	s_nop 0
	v_cndmask_b32_e32 v20, v14, v19, vcc
	v_cmp_eq_u32_e32 vcc, 2, v9
	s_nop 1
	v_cndmask_b32_e32 v20, v20, v18, vcc
	v_cmp_eq_u32_e32 vcc, 3, v9
	;; [unrolled: 3-line block ×14, first 2 shown]
	s_nop 1
	v_cndmask_b32_e32 v9, v20, v3, vcc
	v_or_b32_e32 v20, 12, v24
	v_cmp_eq_u32_e32 vcc, 1, v20
	v_xor_b32_e32 v24, 2, v24
	v_or_b32_e32 v27, 4, v24
	v_cndmask_b32_e32 v21, v14, v19, vcc
	v_cmp_eq_u32_e32 vcc, 2, v20
	s_nop 1
	v_cndmask_b32_e32 v21, v21, v18, vcc
	v_cmp_eq_u32_e32 vcc, 3, v20
	s_nop 1
	;; [unrolled: 3-line block ×14, first 2 shown]
	v_cndmask_b32_e32 v20, v21, v3, vcc
	v_add_u32_e32 v21, -1, v32
	v_and_b32_e32 v25, 3, v21
	v_cmp_eq_u32_e32 vcc, 1, v25
	v_or_b32_e32 v22, 4, v25
	s_nop 0
	v_cndmask_b32_e32 v21, v14, v19, vcc
	v_cmp_eq_u32_e32 vcc, 2, v25
	s_nop 1
	v_cndmask_b32_e32 v21, v21, v18, vcc
	v_cmp_eq_u32_e32 vcc, 3, v25
	;; [unrolled: 3-line block ×29, first 2 shown]
	s_nop 1
	v_cndmask_b32_e32 v22, v23, v3, vcc
	v_or_b32_e32 v23, 8, v25
	v_cmp_eq_u32_e32 vcc, 1, v23
	v_or_b32_e32 v25, 12, v25
	s_nop 0
	v_cndmask_b32_e32 v26, v14, v19, vcc
	v_cmp_eq_u32_e32 vcc, 2, v23
	s_nop 1
	v_cndmask_b32_e32 v26, v26, v18, vcc
	v_cmp_eq_u32_e32 vcc, 3, v23
	;; [unrolled: 3-line block ×59, first 2 shown]
	s_nop 1
	v_cndmask_b32_e32 v27, v28, v3, vcc
	v_or_b32_e32 v28, 8, v24
	v_cmp_eq_u32_e32 vcc, 1, v28
	s_nop 1
	v_cndmask_b32_e32 v29, v14, v19, vcc
	v_cmp_eq_u32_e32 vcc, 2, v28
	s_nop 1
	v_cndmask_b32_e32 v29, v29, v18, vcc
	;; [unrolled: 3-line block ×15, first 2 shown]
	v_or_b32_e32 v29, 12, v24
	v_cmp_eq_u32_e32 vcc, 1, v29
	v_add_u32_e32 v24, 3, v24
	v_or_b32_e32 v33, 4, v24
	v_cndmask_b32_e32 v30, v14, v19, vcc
	v_cmp_eq_u32_e32 vcc, 2, v29
	s_nop 1
	v_cndmask_b32_e32 v30, v30, v18, vcc
	v_cmp_eq_u32_e32 vcc, 3, v29
	s_nop 1
	;; [unrolled: 3-line block ×14, first 2 shown]
	v_cndmask_b32_e32 v29, v30, v3, vcc
	v_and_b32_e32 v30, 3, v24
	v_cmp_eq_u32_e32 vcc, 1, v30
	v_or_b32_e32 v24, 12, v24
	s_nop 0
	v_cndmask_b32_e32 v31, v14, v19, vcc
	v_cmp_eq_u32_e32 vcc, 2, v30
	s_nop 1
	v_cndmask_b32_e32 v31, v31, v18, vcc
	v_cmp_eq_u32_e32 vcc, 3, v30
	;; [unrolled: 3-line block ×14, first 2 shown]
	v_or_b32_e32 v30, 8, v30
	s_nop 0
	v_cndmask_b32_e32 v31, v31, v3, vcc
	v_cmp_eq_u32_e32 vcc, 1, v33
	s_nop 1
	v_cndmask_b32_e32 v34, v14, v19, vcc
	v_cmp_eq_u32_e32 vcc, 2, v33
	;; [unrolled: 3-line block ×31, first 2 shown]
	s_nop 0
	v_mov_b32_dpp v30, v30 quad_perm:[3,0,1,2] row_mask:0xf bank_mask:0xf
	v_cndmask_b32_e32 v14, v14, v19, vcc
	v_cmp_eq_u32_e32 vcc, 2, v24
	s_nop 1
	v_cndmask_b32_e32 v14, v14, v18, vcc
	v_cmp_eq_u32_e32 vcc, 3, v24
	s_nop 1
	v_cndmask_b32_e32 v14, v14, v17, vcc
	v_cmp_eq_u32_e32 vcc, 4, v24
	v_mov_b32_dpp v17, v28 quad_perm:[2,3,0,1] row_mask:0xf bank_mask:0xf
	s_nop 0
	v_cndmask_b32_e32 v10, v14, v10, vcc
	v_cmp_eq_u32_e32 vcc, 5, v24
	s_nop 1
	v_cndmask_b32_e32 v10, v10, v16, vcc
	v_cmp_eq_u32_e32 vcc, 6, v24
	;; [unrolled: 3-line block ×3, first 2 shown]
	v_mov_b32_dpp v15, v27 quad_perm:[2,3,0,1] row_mask:0xf bank_mask:0xf
	v_mov_b32_dpp v27, v31 quad_perm:[3,0,1,2] row_mask:0xf bank_mask:0xf
	v_cndmask_b32_e32 v10, v10, v13, vcc
	v_cmp_eq_u32_e32 vcc, 8, v24
	s_nop 1
	v_cndmask_b32_e32 v6, v10, v6, vcc
	v_cmp_eq_u32_e32 vcc, 9, v24
	v_mov_b32_dpp v10, v25 quad_perm:[1,2,3,0] row_mask:0xf bank_mask:0xf
	s_nop 0
	v_cndmask_b32_e32 v6, v6, v12, vcc
	v_cmp_eq_u32_e32 vcc, 10, v24
	v_mov_b32_dpp v12, v26 quad_perm:[2,3,0,1] row_mask:0xf bank_mask:0xf
	s_nop 0
	v_cndmask_b32_e32 v6, v6, v11, vcc
	v_cmp_eq_u32_e32 vcc, 11, v24
	s_nop 1
	v_cndmask_b32_e32 v6, v6, v8, vcc
	v_cmp_eq_u32_e32 vcc, 12, v24
	v_mov_b32_dpp v8, v23 quad_perm:[1,2,3,0] row_mask:0xf bank_mask:0xf
	s_nop 0
	v_cndmask_b32_e32 v2, v6, v2, vcc
	v_cmp_eq_u32_e32 vcc, 13, v24
	v_mov_b32_dpp v6, v21 quad_perm:[1,2,3,0] row_mask:0xf bank_mask:0xf
	;; [unrolled: 4-line block ×4, first 2 shown]
	v_mov_b32_dpp v29, v33 quad_perm:[3,0,1,2] row_mask:0xf bank_mask:0xf
	v_cndmask_b32_e32 v2, v2, v3, vcc
	v_and_b32_e32 v33, 64, v32
	v_add_u32_e32 v3, 56, v32
	v_mov_b32_dpp v31, v2 quad_perm:[3,0,1,2] row_mask:0xf bank_mask:0xf
	v_add_u32_e32 v2, 60, v32
	v_and_or_b32 v2, v2, 63, v33
	v_lshlrev_b32_e32 v2, 2, v2
	ds_bpermute_b32 v11, v2, v5
	v_add_u32_e32 v5, 48, v32
	v_and_or_b32 v5, v5, 63, v33
	v_lshlrev_b32_e32 v5, 2, v5
	ds_bpermute_b32 v16, v5, v6
	;; [unrolled: 4-line block ×3, first 2 shown]
	v_add_u32_e32 v7, 40, v32
	v_and_or_b32 v3, v3, 63, v33
	v_and_or_b32 v7, v7, 63, v33
	v_lshlrev_b32_e32 v3, 2, v3
	v_lshlrev_b32_e32 v7, 2, v7
	ds_bpermute_b32 v13, v3, v9
	ds_bpermute_b32 v19, v7, v8
	v_add_u32_e32 v8, 36, v32
	v_lshlrev_b32_e32 v9, 2, v32
	v_and_or_b32 v8, v8, 63, v33
	v_xor_b32_e32 v9, 0x80, v9
	v_lshlrev_b32_e32 v8, 2, v8
	ds_bpermute_b32 v22, v9, v12
	v_add_u32_e32 v12, 24, v32
	ds_bpermute_b32 v21, v8, v10
	v_add_u32_e32 v10, 28, v32
	v_and_or_b32 v12, v12, 63, v33
	v_add_u32_e32 v4, 52, v32
	v_and_or_b32 v10, v10, 63, v33
	v_lshlrev_b32_e32 v12, 2, v12
	v_and_or_b32 v4, v4, 63, v33
	v_lshlrev_b32_e32 v10, 2, v10
	ds_bpermute_b32 v25, v12, v17
	v_add_u32_e32 v17, 16, v32
	v_lshlrev_b32_e32 v4, 2, v4
	ds_bpermute_b32 v23, v10, v15
	v_add_u32_e32 v15, 20, v32
	v_and_or_b32 v17, v17, 63, v33
	ds_bpermute_b32 v14, v4, v20
	v_and_or_b32 v15, v15, 63, v33
	v_lshlrev_b32_e32 v20, 2, v17
	v_add_u32_e32 v17, 12, v32
	v_lshlrev_b32_e32 v15, 2, v15
	v_and_or_b32 v17, v17, 63, v33
	ds_bpermute_b32 v26, v15, v24
	v_lshlrev_b32_e32 v24, 2, v17
	v_add_u32_e32 v17, 8, v32
	v_and_or_b32 v17, v17, 63, v33
	ds_bpermute_b32 v28, v20, v27
	v_lshlrev_b32_e32 v27, 2, v17
	ds_bpermute_b32 v17, v27, v30
	v_add_u32_e32 v30, 4, v32
	v_and_or_b32 v30, v30, 63, v33
	v_bfe_u32 v32, v32, 2, 4
	v_lshlrev_b32_e32 v30, 2, v30
	v_cmp_eq_u32_e32 vcc, 1, v32
	ds_bpermute_b32 v33, v30, v31
	ds_bpermute_b32 v29, v24, v29
	s_waitcnt lgkmcnt(14)
	v_cndmask_b32_e32 v31, v0, v11, vcc
	v_cmp_eq_u32_e32 vcc, 2, v32
	s_waitcnt lgkmcnt(11)
	s_nop 0
	v_cndmask_b32_e32 v31, v31, v13, vcc
	v_cmp_eq_u32_e32 vcc, 3, v32
	s_waitcnt lgkmcnt(5)
	s_nop 0
	v_cndmask_b32_e32 v31, v31, v14, vcc
	v_cmp_eq_u32_e32 vcc, 4, v32
	s_nop 1
	v_cndmask_b32_e32 v31, v31, v16, vcc
	v_cmp_eq_u32_e32 vcc, 5, v32
	;; [unrolled: 3-line block ×8, first 2 shown]
	s_waitcnt lgkmcnt(4)
	s_nop 0
	v_cndmask_b32_e32 v31, v31, v26, vcc
	v_cmp_eq_u32_e32 vcc, 12, v32
	s_waitcnt lgkmcnt(3)
	s_nop 0
	v_cndmask_b32_e32 v31, v31, v28, vcc
	v_cmp_eq_u32_e32 vcc, 13, v32
	s_waitcnt lgkmcnt(0)
	s_nop 0
	v_cndmask_b32_e32 v34, v31, v29, vcc
	v_add_u32_e32 v31, -1, v40
	v_and_b32_e32 v31, 15, v31
	v_cmp_eq_u32_e32 vcc, 1, v31
	s_nop 1
	v_cndmask_b32_e32 v35, v0, v11, vcc
	v_cmp_eq_u32_e32 vcc, 2, v31
	s_nop 1
	v_cndmask_b32_e32 v35, v35, v13, vcc
	;; [unrolled: 3-line block ×15, first 2 shown]
	v_add_u32_e32 v35, 14, v40
	v_and_b32_e32 v35, 15, v35
	v_cmp_eq_u32_e32 vcc, 1, v35
	ds_bpermute_b32 v30, v30, v31
	s_nop 0
	v_cndmask_b32_e32 v36, v0, v11, vcc
	v_cmp_eq_u32_e32 vcc, 2, v35
	s_nop 1
	v_cndmask_b32_e32 v36, v36, v13, vcc
	v_cmp_eq_u32_e32 vcc, 3, v35
	;; [unrolled: 3-line block ×14, first 2 shown]
	s_nop 1
	v_cndmask_b32_e32 v35, v36, v33, vcc
	v_add_u32_e32 v36, 13, v40
	v_and_b32_e32 v36, 15, v36
	v_cmp_eq_u32_e32 vcc, 1, v36
	ds_bpermute_b32 v31, v27, v35
	s_nop 0
	v_cndmask_b32_e32 v37, v0, v11, vcc
	v_cmp_eq_u32_e32 vcc, 2, v36
	s_nop 1
	v_cndmask_b32_e32 v37, v37, v13, vcc
	v_cmp_eq_u32_e32 vcc, 3, v36
	s_nop 1
	v_cndmask_b32_e32 v37, v37, v14, vcc
	v_cmp_eq_u32_e32 vcc, 4, v36
	s_nop 1
	v_cndmask_b32_e32 v37, v37, v16, vcc
	v_cmp_eq_u32_e32 vcc, 5, v36
	s_nop 1
	v_cndmask_b32_e32 v37, v37, v18, vcc
	v_cmp_eq_u32_e32 vcc, 6, v36
	s_nop 1
	v_cndmask_b32_e32 v37, v37, v19, vcc
	v_cmp_eq_u32_e32 vcc, 7, v36
	s_nop 1
	v_cndmask_b32_e32 v37, v37, v21, vcc
	v_cmp_eq_u32_e32 vcc, 8, v36
	s_nop 1
	v_cndmask_b32_e32 v37, v37, v22, vcc
	v_cmp_eq_u32_e32 vcc, 9, v36
	s_nop 1
	v_cndmask_b32_e32 v37, v37, v23, vcc
	v_cmp_eq_u32_e32 vcc, 10, v36
	s_nop 1
	v_cndmask_b32_e32 v37, v37, v25, vcc
	v_cmp_eq_u32_e32 vcc, 11, v36
	s_nop 1
	v_cndmask_b32_e32 v37, v37, v26, vcc
	v_cmp_eq_u32_e32 vcc, 12, v36
	s_nop 1
	v_cndmask_b32_e32 v37, v37, v28, vcc
	v_cmp_eq_u32_e32 vcc, 13, v36
	s_nop 1
	v_cndmask_b32_e32 v37, v37, v29, vcc
	v_cmp_eq_u32_e32 vcc, 14, v36
	s_nop 1
	v_cndmask_b32_e32 v37, v37, v17, vcc
	v_cmp_eq_u32_e32 vcc, 15, v36
	s_nop 1
	v_cndmask_b32_e32 v36, v37, v33, vcc
	v_add_u32_e32 v37, 12, v40
	v_and_b32_e32 v37, 15, v37
	v_cmp_eq_u32_e32 vcc, 1, v37
	s_nop 1
	v_cndmask_b32_e32 v38, v0, v11, vcc
	v_cmp_eq_u32_e32 vcc, 2, v37
	s_nop 1
	v_cndmask_b32_e32 v38, v38, v13, vcc
	v_cmp_eq_u32_e32 vcc, 3, v37
	s_nop 1
	v_cndmask_b32_e32 v38, v38, v14, vcc
	v_cmp_eq_u32_e32 vcc, 4, v37
	s_nop 1
	v_cndmask_b32_e32 v38, v38, v16, vcc
	v_cmp_eq_u32_e32 vcc, 5, v37
	s_nop 1
	v_cndmask_b32_e32 v38, v38, v18, vcc
	v_cmp_eq_u32_e32 vcc, 6, v37
	s_nop 1
	v_cndmask_b32_e32 v38, v38, v19, vcc
	v_cmp_eq_u32_e32 vcc, 7, v37
	s_nop 1
	v_cndmask_b32_e32 v38, v38, v21, vcc
	v_cmp_eq_u32_e32 vcc, 8, v37
	s_nop 1
	v_cndmask_b32_e32 v38, v38, v22, vcc
	v_cmp_eq_u32_e32 vcc, 9, v37
	s_nop 1
	v_cndmask_b32_e32 v38, v38, v23, vcc
	v_cmp_eq_u32_e32 vcc, 10, v37
	s_nop 1
	v_cndmask_b32_e32 v38, v38, v25, vcc
	v_cmp_eq_u32_e32 vcc, 11, v37
	s_nop 1
	v_cndmask_b32_e32 v38, v38, v26, vcc
	v_cmp_eq_u32_e32 vcc, 12, v37
	s_nop 1
	v_cndmask_b32_e32 v38, v38, v28, vcc
	v_cmp_eq_u32_e32 vcc, 13, v37
	s_nop 1
	v_cndmask_b32_e32 v38, v38, v29, vcc
	v_cmp_eq_u32_e32 vcc, 14, v37
	s_nop 1
	v_cndmask_b32_e32 v38, v38, v17, vcc
	v_cmp_eq_u32_e32 vcc, 15, v37
	s_nop 1
	v_cndmask_b32_e32 v37, v38, v33, vcc
	v_add_u32_e32 v38, 11, v40
	v_and_b32_e32 v38, 15, v38
	v_cmp_eq_u32_e32 vcc, 1, v38
	ds_bpermute_b32 v27, v20, v37
	s_nop 0
	v_cndmask_b32_e32 v39, v0, v11, vcc
	v_cmp_eq_u32_e32 vcc, 2, v38
	s_nop 1
	v_cndmask_b32_e32 v39, v39, v13, vcc
	v_cmp_eq_u32_e32 vcc, 3, v38
	;; [unrolled: 3-line block ×14, first 2 shown]
	s_nop 1
	v_cndmask_b32_e32 v38, v39, v33, vcc
	v_add_u32_e32 v39, 10, v40
	v_and_b32_e32 v39, 15, v39
	v_cmp_eq_u32_e32 vcc, 1, v39
	v_add_u32_e32 v40, 9, v40
	v_and_b32_e32 v40, 15, v40
	v_cndmask_b32_e32 v41, v0, v11, vcc
	v_cmp_eq_u32_e32 vcc, 2, v39
	s_nop 1
	v_cndmask_b32_e32 v41, v41, v13, vcc
	v_cmp_eq_u32_e32 vcc, 3, v39
	s_nop 1
	;; [unrolled: 3-line block ×29, first 2 shown]
	v_cndmask_b32_e32 v40, v41, v33, vcc
	v_xor_b32_e32 v41, 8, v32
	v_cmp_eq_u32_e32 vcc, 1, v41
	v_add_u32_e32 v43, -1, v41
	v_and_b32_e32 v43, 15, v43
	v_cndmask_b32_e32 v42, v0, v11, vcc
	v_cmp_eq_u32_e32 vcc, 2, v41
	s_nop 1
	v_cndmask_b32_e32 v42, v42, v13, vcc
	v_cmp_eq_u32_e32 vcc, 3, v41
	s_nop 1
	;; [unrolled: 3-line block ×29, first 2 shown]
	v_cndmask_b32_e32 v43, v44, v33, vcc
	v_add_u32_e32 v44, 14, v41
	v_and_b32_e32 v44, 15, v44
	v_cmp_eq_u32_e32 vcc, 1, v44
	s_nop 1
	v_cndmask_b32_e32 v45, v0, v11, vcc
	v_cmp_eq_u32_e32 vcc, 2, v44
	s_nop 1
	v_cndmask_b32_e32 v45, v45, v13, vcc
	v_cmp_eq_u32_e32 vcc, 3, v44
	s_nop 1
	v_cndmask_b32_e32 v45, v45, v14, vcc
	v_cmp_eq_u32_e32 vcc, 4, v44
	s_nop 1
	v_cndmask_b32_e32 v45, v45, v16, vcc
	v_cmp_eq_u32_e32 vcc, 5, v44
	s_nop 1
	v_cndmask_b32_e32 v45, v45, v18, vcc
	v_cmp_eq_u32_e32 vcc, 6, v44
	s_nop 1
	v_cndmask_b32_e32 v45, v45, v19, vcc
	v_cmp_eq_u32_e32 vcc, 7, v44
	s_nop 1
	v_cndmask_b32_e32 v45, v45, v21, vcc
	v_cmp_eq_u32_e32 vcc, 8, v44
	s_nop 1
	v_cndmask_b32_e32 v45, v45, v22, vcc
	v_cmp_eq_u32_e32 vcc, 9, v44
	s_nop 1
	v_cndmask_b32_e32 v45, v45, v23, vcc
	v_cmp_eq_u32_e32 vcc, 10, v44
	s_nop 1
	v_cndmask_b32_e32 v45, v45, v25, vcc
	v_cmp_eq_u32_e32 vcc, 11, v44
	s_nop 1
	v_cndmask_b32_e32 v45, v45, v26, vcc
	v_cmp_eq_u32_e32 vcc, 12, v44
	s_nop 1
	v_cndmask_b32_e32 v45, v45, v28, vcc
	v_cmp_eq_u32_e32 vcc, 13, v44
	s_nop 1
	v_cndmask_b32_e32 v45, v45, v29, vcc
	v_cmp_eq_u32_e32 vcc, 14, v44
	s_nop 1
	v_cndmask_b32_e32 v45, v45, v17, vcc
	v_cmp_eq_u32_e32 vcc, 15, v44
	s_nop 1
	v_cndmask_b32_e32 v44, v45, v33, vcc
	v_add_u32_e32 v45, 13, v41
	v_and_b32_e32 v45, 15, v45
	v_cmp_eq_u32_e32 vcc, 1, v45
	s_nop 1
	v_cndmask_b32_e32 v46, v0, v11, vcc
	v_cmp_eq_u32_e32 vcc, 2, v45
	s_nop 1
	v_cndmask_b32_e32 v46, v46, v13, vcc
	v_cmp_eq_u32_e32 vcc, 3, v45
	s_nop 1
	v_cndmask_b32_e32 v46, v46, v14, vcc
	v_cmp_eq_u32_e32 vcc, 4, v45
	s_nop 1
	v_cndmask_b32_e32 v46, v46, v16, vcc
	v_cmp_eq_u32_e32 vcc, 5, v45
	s_nop 1
	v_cndmask_b32_e32 v46, v46, v18, vcc
	v_cmp_eq_u32_e32 vcc, 6, v45
	s_nop 1
	v_cndmask_b32_e32 v46, v46, v19, vcc
	v_cmp_eq_u32_e32 vcc, 7, v45
	s_nop 1
	v_cndmask_b32_e32 v46, v46, v21, vcc
	v_cmp_eq_u32_e32 vcc, 8, v45
	s_nop 1
	v_cndmask_b32_e32 v46, v46, v22, vcc
	v_cmp_eq_u32_e32 vcc, 9, v45
	s_nop 1
	v_cndmask_b32_e32 v46, v46, v23, vcc
	v_cmp_eq_u32_e32 vcc, 10, v45
	s_nop 1
	v_cndmask_b32_e32 v46, v46, v25, vcc
	v_cmp_eq_u32_e32 vcc, 11, v45
	s_nop 1
	v_cndmask_b32_e32 v46, v46, v26, vcc
	v_cmp_eq_u32_e32 vcc, 12, v45
	s_nop 1
	v_cndmask_b32_e32 v46, v46, v28, vcc
	v_cmp_eq_u32_e32 vcc, 13, v45
	s_nop 1
	v_cndmask_b32_e32 v46, v46, v29, vcc
	v_cmp_eq_u32_e32 vcc, 14, v45
	s_nop 1
	v_cndmask_b32_e32 v46, v46, v17, vcc
	v_cmp_eq_u32_e32 vcc, 15, v45
	s_nop 1
	;; [unrolled: 47-line block ×4, first 2 shown]
	v_cndmask_b32_e32 v47, v48, v33, vcc
	v_add_u32_e32 v48, 10, v41
	v_and_b32_e32 v48, 15, v48
	v_cmp_eq_u32_e32 vcc, 1, v48
	v_add_u32_e32 v41, 9, v41
	v_and_b32_e32 v41, 15, v41
	v_cndmask_b32_e32 v49, v0, v11, vcc
	v_cmp_eq_u32_e32 vcc, 2, v48
	ds_bpermute_b32 v20, v4, v47
	s_nop 0
	v_cndmask_b32_e32 v49, v49, v13, vcc
	v_cmp_eq_u32_e32 vcc, 3, v48
	s_nop 1
	v_cndmask_b32_e32 v49, v49, v14, vcc
	v_cmp_eq_u32_e32 vcc, 4, v48
	;; [unrolled: 3-line block ×19, first 2 shown]
	ds_bpermute_b32 v18, v6, v45
	s_nop 0
	v_cndmask_b32_e32 v0, v0, v19, vcc
	v_cmp_eq_u32_e32 vcc, 7, v41
	ds_bpermute_b32 v19, v5, v46
	s_nop 0
	v_cndmask_b32_e32 v0, v0, v21, vcc
	v_cmp_eq_u32_e32 vcc, 8, v41
	;; [unrolled: 4-line block ×6, first 2 shown]
	ds_bpermute_b32 v26, v24, v36
	ds_bpermute_b32 v24, v8, v43
	v_cndmask_b32_e32 v0, v0, v28, vcc
	v_cmp_eq_u32_e32 vcc, 13, v41
	ds_bpermute_b32 v28, v15, v38
	s_nop 0
	v_cndmask_b32_e32 v0, v0, v29, vcc
	v_cmp_eq_u32_e32 vcc, 14, v41
	ds_bpermute_b32 v29, v12, v39
	s_nop 0
	v_cndmask_b32_e32 v0, v0, v17, vcc
	v_cmp_eq_u32_e32 vcc, 15, v41
	s_nop 1
	v_cndmask_b32_e32 v0, v0, v33, vcc
	ds_bpermute_b32 v36, v2, v0
	v_cmp_eq_u32_e32 vcc, 14, v32
	s_nop 1
	v_cndmask_b32_e32 v0, v34, v17, vcc
	v_cmp_eq_u32_e32 vcc, 15, v32
	s_nop 1
	v_cndmask_b32_e32 v0, v0, v33, vcc
.LBB33_4:
	s_waitcnt vmcnt(0)
	v_lshlrev_b32_e32 v3, 2, v1
	s_waitcnt lgkmcnt(8)
	v_mov_b32_e32 v1, v30
	v_mov_b32_e32 v2, v31
	global_store_dwordx3 v3, v[0:2], s[30:31]
	s_waitcnt lgkmcnt(1)
	global_store_dwordx4 v3, v[26:29], s[30:31] offset:12
	global_store_dwordx4 v3, v[22:25], s[30:31] offset:28
	s_waitcnt lgkmcnt(0)
	global_store_dwordx4 v3, v[18:21], s[30:31] offset:44
	global_store_dword v3, v36, s[30:31] offset:60
	s_endpgm
	.section	.rodata,"a",@progbits
	.p2align	6, 0x0
	.amdhsa_kernel _Z20warp_exchange_kernelILj16ELj64EN6common25BlockedToStripedShuffleOpEfEvPT2_S3_b
		.amdhsa_group_segment_fixed_size 0
		.amdhsa_private_segment_fixed_size 0
		.amdhsa_kernarg_size 20
		.amdhsa_user_sgpr_count 2
		.amdhsa_user_sgpr_dispatch_ptr 0
		.amdhsa_user_sgpr_queue_ptr 0
		.amdhsa_user_sgpr_kernarg_segment_ptr 1
		.amdhsa_user_sgpr_dispatch_id 0
		.amdhsa_user_sgpr_kernarg_preload_length 0
		.amdhsa_user_sgpr_kernarg_preload_offset 0
		.amdhsa_user_sgpr_private_segment_size 0
		.amdhsa_uses_dynamic_stack 0
		.amdhsa_enable_private_segment 0
		.amdhsa_system_sgpr_workgroup_id_x 1
		.amdhsa_system_sgpr_workgroup_id_y 0
		.amdhsa_system_sgpr_workgroup_id_z 0
		.amdhsa_system_sgpr_workgroup_info 0
		.amdhsa_system_vgpr_workitem_id 0
		.amdhsa_next_free_vgpr 66
		.amdhsa_next_free_sgpr 32
		.amdhsa_accum_offset 68
		.amdhsa_reserve_vcc 1
		.amdhsa_float_round_mode_32 0
		.amdhsa_float_round_mode_16_64 0
		.amdhsa_float_denorm_mode_32 3
		.amdhsa_float_denorm_mode_16_64 3
		.amdhsa_dx10_clamp 1
		.amdhsa_ieee_mode 1
		.amdhsa_fp16_overflow 0
		.amdhsa_tg_split 0
		.amdhsa_exception_fp_ieee_invalid_op 0
		.amdhsa_exception_fp_denorm_src 0
		.amdhsa_exception_fp_ieee_div_zero 0
		.amdhsa_exception_fp_ieee_overflow 0
		.amdhsa_exception_fp_ieee_underflow 0
		.amdhsa_exception_fp_ieee_inexact 0
		.amdhsa_exception_int_div_zero 0
	.end_amdhsa_kernel
	.section	.text._Z20warp_exchange_kernelILj16ELj64EN6common25BlockedToStripedShuffleOpEfEvPT2_S3_b,"axG",@progbits,_Z20warp_exchange_kernelILj16ELj64EN6common25BlockedToStripedShuffleOpEfEvPT2_S3_b,comdat
.Lfunc_end33:
	.size	_Z20warp_exchange_kernelILj16ELj64EN6common25BlockedToStripedShuffleOpEfEvPT2_S3_b, .Lfunc_end33-_Z20warp_exchange_kernelILj16ELj64EN6common25BlockedToStripedShuffleOpEfEvPT2_S3_b
                                        ; -- End function
	.section	.AMDGPU.csdata,"",@progbits
; Kernel info:
; codeLenInByte = 14932
; NumSgprs: 38
; NumVgprs: 66
; NumAgprs: 0
; TotalNumVgprs: 66
; ScratchSize: 0
; MemoryBound: 0
; FloatMode: 240
; IeeeMode: 1
; LDSByteSize: 0 bytes/workgroup (compile time only)
; SGPRBlocks: 4
; VGPRBlocks: 8
; NumSGPRsForWavesPerEU: 38
; NumVGPRsForWavesPerEU: 66
; AccumOffset: 68
; Occupancy: 7
; WaveLimiterHint : 0
; COMPUTE_PGM_RSRC2:SCRATCH_EN: 0
; COMPUTE_PGM_RSRC2:USER_SGPR: 2
; COMPUTE_PGM_RSRC2:TRAP_HANDLER: 0
; COMPUTE_PGM_RSRC2:TGID_X_EN: 1
; COMPUTE_PGM_RSRC2:TGID_Y_EN: 0
; COMPUTE_PGM_RSRC2:TGID_Z_EN: 0
; COMPUTE_PGM_RSRC2:TIDIG_COMP_CNT: 0
; COMPUTE_PGM_RSRC3_GFX90A:ACCUM_OFFSET: 16
; COMPUTE_PGM_RSRC3_GFX90A:TG_SPLIT: 0
	.section	.text._Z20warp_exchange_kernelILj8ELj8EN6common25BlockedToStripedShuffleOpE12hip_bfloat16EvPT2_S4_b,"axG",@progbits,_Z20warp_exchange_kernelILj8ELj8EN6common25BlockedToStripedShuffleOpE12hip_bfloat16EvPT2_S4_b,comdat
	.protected	_Z20warp_exchange_kernelILj8ELj8EN6common25BlockedToStripedShuffleOpE12hip_bfloat16EvPT2_S4_b ; -- Begin function _Z20warp_exchange_kernelILj8ELj8EN6common25BlockedToStripedShuffleOpE12hip_bfloat16EvPT2_S4_b
	.globl	_Z20warp_exchange_kernelILj8ELj8EN6common25BlockedToStripedShuffleOpE12hip_bfloat16EvPT2_S4_b
	.p2align	8
	.type	_Z20warp_exchange_kernelILj8ELj8EN6common25BlockedToStripedShuffleOpE12hip_bfloat16EvPT2_S4_b,@function
_Z20warp_exchange_kernelILj8ELj8EN6common25BlockedToStripedShuffleOpE12hip_bfloat16EvPT2_S4_b: ; @_Z20warp_exchange_kernelILj8ELj8EN6common25BlockedToStripedShuffleOpE12hip_bfloat16EvPT2_S4_b
; %bb.0:
	s_load_dwordx4 s[4:7], s[2:3], 0x0
	s_load_dword s8, s[2:3], 0x10
	v_and_b32_e32 v1, 0x3ff, v0
	v_lshlrev_b32_e32 v2, 4, v1
	s_load_dwordx2 s[0:1], s[0:1], 0x4
	s_waitcnt lgkmcnt(0)
	global_load_dwordx4 v[2:5], v2, s[4:5]
	v_bfe_u32 v7, v0, 10, 10
	v_bfe_u32 v0, v0, 20, 10
	s_and_b32 s2, s8, 1
	s_lshr_b32 s0, s0, 16
	s_mul_i32 s0, s0, s1
	v_mul_lo_u32 v6, s0, v1
	v_mul_u32_u24_e32 v7, s1, v7
	v_add3_u32 v6, v6, v7, v0
	v_lshlrev_b32_e32 v0, 3, v1
	v_mbcnt_lo_u32_b32 v1, -1, 0
	v_mbcnt_hi_u32_b32 v7, -1, v1
	v_and_b32_e32 v8, 4, v7
	v_lshlrev_b32_e32 v1, 1, v8
	v_cmp_eq_u32_e32 vcc, 0, v8
	s_cmp_eq_u32 s2, 0
	v_xor_b32_e32 v15, 8, v1
	v_lshlrev_b32_e32 v1, 4, v6
	v_cndmask_b32_e64 v14, 2, 10, vcc
	v_cndmask_b32_e64 v13, 4, 12, vcc
	;; [unrolled: 1-line block ×3, first 2 shown]
	v_and_b32_e32 v11, 2, v7
	v_and_b32_e32 v10, 1, v7
	s_cbranch_scc0 .LBB34_2
; %bb.1:
	s_waitcnt vmcnt(0)
	ds_write_b128 v1, v[2:5]
	v_or_b32_e32 v6, v1, v15
	ds_read_u16 v7, v6
	v_or_b32_e32 v8, v1, v14
	v_lshlrev_b32_e32 v9, 1, v11
	v_xor_b32_e32 v9, 4, v9
	v_or_b32_e32 v9, v1, v9
	s_waitcnt lgkmcnt(0)
	ds_swizzle_b32 v7, v7 offset:swizzle(SWAP,4)
	v_cmp_eq_u32_e32 vcc, 0, v11
	v_cmp_eq_u32_e64 s[0:1], 0, v10
	s_waitcnt lgkmcnt(0)
	ds_write_b16 v6, v7
	ds_read_u16 v6, v8
	v_or_b32_e32 v7, v1, v13
	v_cndmask_b32_e64 v16, 2, 6, vcc
	v_or_b32_e32 v16, v1, v16
	v_cndmask_b32_e64 v17, 8, 12, vcc
	s_waitcnt lgkmcnt(0)
	ds_swizzle_b32 v6, v6 offset:swizzle(SWAP,4)
	v_or_b32_e32 v17, v1, v17
	v_cndmask_b32_e64 v18, 10, 14, vcc
	v_or_b32_e32 v18, v1, v18
	v_cndmask_b32_e64 v19, 12, 14, s[0:1]
	s_waitcnt lgkmcnt(0)
	ds_write_b16 v8, v6
	ds_read_u16 v6, v7
	v_or_b32_e32 v8, v1, v12
	v_or_b32_e32 v19, v1, v19
	s_waitcnt lgkmcnt(0)
	ds_swizzle_b32 v6, v6 offset:swizzle(SWAP,4)
	s_waitcnt lgkmcnt(0)
	ds_write_b16 v7, v6
	ds_read_u16 v6, v8
	ds_read_u16 v7, v9
	s_waitcnt lgkmcnt(1)
	ds_swizzle_b32 v6, v6 offset:swizzle(SWAP,4)
	s_waitcnt lgkmcnt(1)
	ds_swizzle_b32 v7, v7 offset:swizzle(SWAP,2)
	s_waitcnt lgkmcnt(1)
	ds_write_b16 v8, v6
	s_waitcnt lgkmcnt(1)
	ds_write_b16 v9, v7
	ds_read_u16 v6, v16
	ds_read_u16 v7, v17
	v_lshlrev_b32_e32 v8, 1, v10
	v_xor_b32_e32 v8, 2, v8
	v_cndmask_b32_e64 v9, 4, 6, s[0:1]
	s_waitcnt lgkmcnt(1)
	ds_swizzle_b32 v6, v6 offset:swizzle(SWAP,2)
	s_waitcnt lgkmcnt(1)
	ds_swizzle_b32 v7, v7 offset:swizzle(SWAP,2)
	v_or_b32_e32 v8, v1, v8
	v_or_b32_e32 v9, v1, v9
	s_waitcnt lgkmcnt(1)
	ds_write_b16 v16, v6
	s_waitcnt lgkmcnt(1)
	ds_write_b16 v17, v7
	ds_read_u16 v7, v18
	ds_read_u16 v6, v8
	;; [unrolled: 1-line block ×3, first 2 shown]
	v_cndmask_b32_e64 v17, 8, 10, s[0:1]
	v_or_b32_e32 v17, v1, v17
	s_waitcnt lgkmcnt(2)
	ds_swizzle_b32 v7, v7 offset:swizzle(SWAP,2)
	s_waitcnt lgkmcnt(2)
	ds_swizzle_b32 v6, v6 offset:swizzle(SWAP,1)
	s_waitcnt lgkmcnt(2)
	ds_swizzle_b32 v16, v16 offset:swizzle(SWAP,1)
	s_waitcnt lgkmcnt(2)
	ds_write_b16 v18, v7
	ds_read_u16 v7, v17
	ds_read_u16 v18, v19
	s_waitcnt lgkmcnt(1)
	ds_swizzle_b32 v7, v7 offset:swizzle(SWAP,1)
	s_waitcnt lgkmcnt(1)
	ds_swizzle_b32 v18, v18 offset:swizzle(SWAP,1)
	ds_write_b16 v8, v6
	ds_write_b16 v9, v16
	s_waitcnt lgkmcnt(3)
	ds_write_b16 v17, v7
	s_waitcnt lgkmcnt(3)
	ds_write_b16 v19, v18
	ds_read_b128 v[6:9], v1
	s_cbranch_execz .LBB34_3
	s_branch .LBB34_4
.LBB34_2:
                                        ; implicit-def: $vgpr8_vgpr9
.LBB34_3:
	s_waitcnt lgkmcnt(0)
	v_add_u32_e32 v6, 0x4000, v1
	s_waitcnt vmcnt(0)
	ds_write_b128 v1, v[2:5] offset:16384
	v_or_b32_e32 v2, v6, v15
	ds_read_u16 v3, v2
	v_or_b32_e32 v4, v6, v14
	v_or_b32_e32 v5, v6, v12
	v_cmp_eq_u32_e32 vcc, 0, v11
	v_cmp_eq_u32_e64 s[0:1], 0, v10
	s_waitcnt lgkmcnt(0)
	ds_swizzle_b32 v3, v3 offset:swizzle(SWAP,4)
	v_cndmask_b32_e64 v7, 2, 6, vcc
	v_or_b32_e32 v7, v6, v7
	v_cndmask_b32_e64 v8, 8, 12, vcc
	v_or_b32_e32 v8, v6, v8
	s_waitcnt lgkmcnt(0)
	ds_write_b16 v2, v3
	ds_read_u16 v2, v4
	v_or_b32_e32 v3, v6, v13
	v_cndmask_b32_e64 v9, 10, 14, vcc
	v_or_b32_e32 v9, v6, v9
	s_waitcnt lgkmcnt(0)
	ds_swizzle_b32 v2, v2 offset:swizzle(SWAP,4)
	s_waitcnt lgkmcnt(0)
	ds_write_b16 v4, v2
	ds_read_u16 v2, v3
	v_lshlrev_b32_e32 v4, 1, v11
	v_xor_b32_e32 v4, 4, v4
	v_or_b32_e32 v4, v6, v4
	s_waitcnt lgkmcnt(0)
	ds_swizzle_b32 v2, v2 offset:swizzle(SWAP,4)
	s_waitcnt lgkmcnt(0)
	ds_write_b16 v3, v2
	ds_read_u16 v2, v5
	ds_read_u16 v3, v4
	s_waitcnt lgkmcnt(1)
	ds_swizzle_b32 v2, v2 offset:swizzle(SWAP,4)
	s_waitcnt lgkmcnt(1)
	ds_swizzle_b32 v3, v3 offset:swizzle(SWAP,2)
	s_waitcnt lgkmcnt(1)
	ds_write_b16 v5, v2
	s_waitcnt lgkmcnt(1)
	ds_write_b16 v4, v3
	ds_read_u16 v2, v7
	ds_read_u16 v3, v8
	v_lshlrev_b32_e32 v4, 1, v10
	v_xor_b32_e32 v4, 2, v4
	v_cndmask_b32_e64 v5, 4, 6, s[0:1]
	s_waitcnt lgkmcnt(1)
	ds_swizzle_b32 v2, v2 offset:swizzle(SWAP,2)
	s_waitcnt lgkmcnt(1)
	ds_swizzle_b32 v3, v3 offset:swizzle(SWAP,2)
	v_or_b32_e32 v4, v6, v4
	v_or_b32_e32 v5, v6, v5
	v_cndmask_b32_e64 v10, 12, 14, s[0:1]
	s_waitcnt lgkmcnt(1)
	ds_write_b16 v7, v2
	s_waitcnt lgkmcnt(1)
	ds_write_b16 v8, v3
	ds_read_u16 v3, v9
	ds_read_u16 v2, v4
	;; [unrolled: 1-line block ×3, first 2 shown]
	v_cndmask_b32_e64 v8, 8, 10, s[0:1]
	v_or_b32_e32 v8, v6, v8
	v_or_b32_e32 v6, v6, v10
	s_waitcnt lgkmcnt(2)
	ds_swizzle_b32 v3, v3 offset:swizzle(SWAP,2)
	s_waitcnt lgkmcnt(2)
	ds_swizzle_b32 v2, v2 offset:swizzle(SWAP,1)
	;; [unrolled: 2-line block ×3, first 2 shown]
	s_waitcnt lgkmcnt(2)
	ds_write_b16 v9, v3
	ds_read_u16 v3, v8
	ds_read_u16 v9, v6
	s_waitcnt lgkmcnt(1)
	ds_swizzle_b32 v3, v3 offset:swizzle(SWAP,1)
	s_waitcnt lgkmcnt(1)
	ds_swizzle_b32 v9, v9 offset:swizzle(SWAP,1)
	ds_write_b16 v4, v2
	ds_write_b16 v5, v7
	s_waitcnt lgkmcnt(3)
	ds_write_b16 v8, v3
	s_waitcnt lgkmcnt(3)
	ds_write_b16 v6, v9
	ds_read_b128 v[6:9], v1 offset:16384
.LBB34_4:
	v_lshlrev_b32_e32 v0, 1, v0
	s_waitcnt lgkmcnt(0)
	global_store_dwordx4 v0, v[6:9], s[6:7]
	s_endpgm
	.section	.rodata,"a",@progbits
	.p2align	6, 0x0
	.amdhsa_kernel _Z20warp_exchange_kernelILj8ELj8EN6common25BlockedToStripedShuffleOpE12hip_bfloat16EvPT2_S4_b
		.amdhsa_group_segment_fixed_size 32768
		.amdhsa_private_segment_fixed_size 0
		.amdhsa_kernarg_size 20
		.amdhsa_user_sgpr_count 4
		.amdhsa_user_sgpr_dispatch_ptr 1
		.amdhsa_user_sgpr_queue_ptr 0
		.amdhsa_user_sgpr_kernarg_segment_ptr 1
		.amdhsa_user_sgpr_dispatch_id 0
		.amdhsa_user_sgpr_kernarg_preload_length 0
		.amdhsa_user_sgpr_kernarg_preload_offset 0
		.amdhsa_user_sgpr_private_segment_size 0
		.amdhsa_uses_dynamic_stack 0
		.amdhsa_enable_private_segment 0
		.amdhsa_system_sgpr_workgroup_id_x 1
		.amdhsa_system_sgpr_workgroup_id_y 0
		.amdhsa_system_sgpr_workgroup_id_z 0
		.amdhsa_system_sgpr_workgroup_info 0
		.amdhsa_system_vgpr_workitem_id 2
		.amdhsa_next_free_vgpr 20
		.amdhsa_next_free_sgpr 9
		.amdhsa_accum_offset 20
		.amdhsa_reserve_vcc 1
		.amdhsa_float_round_mode_32 0
		.amdhsa_float_round_mode_16_64 0
		.amdhsa_float_denorm_mode_32 3
		.amdhsa_float_denorm_mode_16_64 3
		.amdhsa_dx10_clamp 1
		.amdhsa_ieee_mode 1
		.amdhsa_fp16_overflow 0
		.amdhsa_tg_split 0
		.amdhsa_exception_fp_ieee_invalid_op 0
		.amdhsa_exception_fp_denorm_src 0
		.amdhsa_exception_fp_ieee_div_zero 0
		.amdhsa_exception_fp_ieee_overflow 0
		.amdhsa_exception_fp_ieee_underflow 0
		.amdhsa_exception_fp_ieee_inexact 0
		.amdhsa_exception_int_div_zero 0
	.end_amdhsa_kernel
	.section	.text._Z20warp_exchange_kernelILj8ELj8EN6common25BlockedToStripedShuffleOpE12hip_bfloat16EvPT2_S4_b,"axG",@progbits,_Z20warp_exchange_kernelILj8ELj8EN6common25BlockedToStripedShuffleOpE12hip_bfloat16EvPT2_S4_b,comdat
.Lfunc_end34:
	.size	_Z20warp_exchange_kernelILj8ELj8EN6common25BlockedToStripedShuffleOpE12hip_bfloat16EvPT2_S4_b, .Lfunc_end34-_Z20warp_exchange_kernelILj8ELj8EN6common25BlockedToStripedShuffleOpE12hip_bfloat16EvPT2_S4_b
                                        ; -- End function
	.section	.AMDGPU.csdata,"",@progbits
; Kernel info:
; codeLenInByte = 1256
; NumSgprs: 15
; NumVgprs: 20
; NumAgprs: 0
; TotalNumVgprs: 20
; ScratchSize: 0
; MemoryBound: 0
; FloatMode: 240
; IeeeMode: 1
; LDSByteSize: 32768 bytes/workgroup (compile time only)
; SGPRBlocks: 1
; VGPRBlocks: 2
; NumSGPRsForWavesPerEU: 15
; NumVGPRsForWavesPerEU: 20
; AccumOffset: 20
; Occupancy: 8
; WaveLimiterHint : 0
; COMPUTE_PGM_RSRC2:SCRATCH_EN: 0
; COMPUTE_PGM_RSRC2:USER_SGPR: 4
; COMPUTE_PGM_RSRC2:TRAP_HANDLER: 0
; COMPUTE_PGM_RSRC2:TGID_X_EN: 1
; COMPUTE_PGM_RSRC2:TGID_Y_EN: 0
; COMPUTE_PGM_RSRC2:TGID_Z_EN: 0
; COMPUTE_PGM_RSRC2:TIDIG_COMP_CNT: 2
; COMPUTE_PGM_RSRC3_GFX90A:ACCUM_OFFSET: 4
; COMPUTE_PGM_RSRC3_GFX90A:TG_SPLIT: 0
	.section	.text._Z20warp_exchange_kernelILj64ELj64EN6common25BlockedToStripedShuffleOpEdEvPT2_S3_b,"axG",@progbits,_Z20warp_exchange_kernelILj64ELj64EN6common25BlockedToStripedShuffleOpEdEvPT2_S3_b,comdat
	.protected	_Z20warp_exchange_kernelILj64ELj64EN6common25BlockedToStripedShuffleOpEdEvPT2_S3_b ; -- Begin function _Z20warp_exchange_kernelILj64ELj64EN6common25BlockedToStripedShuffleOpEdEvPT2_S3_b
	.globl	_Z20warp_exchange_kernelILj64ELj64EN6common25BlockedToStripedShuffleOpEdEvPT2_S3_b
	.p2align	8
	.type	_Z20warp_exchange_kernelILj64ELj64EN6common25BlockedToStripedShuffleOpEdEvPT2_S3_b,@function
_Z20warp_exchange_kernelILj64ELj64EN6common25BlockedToStripedShuffleOpEdEvPT2_S3_b: ; @_Z20warp_exchange_kernelILj64ELj64EN6common25BlockedToStripedShuffleOpEdEvPT2_S3_b
; %bb.0:
	s_load_dword s2, s[0:1], 0x10
	s_load_dwordx4 s[4:7], s[0:1], 0x0
	v_lshlrev_b32_e32 v1, 6, v0
	v_lshlrev_b32_e32 v0, 9, v0
	scratch_store_dword off, v1, off offset:528 ; 4-byte Folded Spill
	v_mbcnt_lo_u32_b32 v1, -1, 0
	s_waitcnt lgkmcnt(0)
	global_load_dwordx4 v[2:5], v0, s[4:5] offset:48
	s_bitcmp0_b32 s2, 0
	v_mbcnt_hi_u32_b32 v58, -1, v1
	s_waitcnt vmcnt(0)
	scratch_store_dwordx4 off, v[2:5], off offset:532 ; 16-byte Folded Spill
	global_load_dwordx4 v[120:123], v0, s[4:5] offset:32
	global_load_dwordx4 v[124:127], v0, s[4:5] offset:16
	global_load_dwordx4 v[112:115], v0, s[4:5]
	global_load_dwordx4 v[92:95], v0, s[4:5] offset:112
	global_load_dwordx4 v[104:107], v0, s[4:5] offset:96
	global_load_dwordx4 v[108:111], v0, s[4:5] offset:80
	global_load_dwordx4 v[116:119], v0, s[4:5] offset:64
	global_load_dwordx4 v[26:29], v0, s[4:5] offset:176
	global_load_dwordx4 v[80:83], v0, s[4:5] offset:160
	global_load_dwordx4 v[84:87], v0, s[4:5] offset:144
	global_load_dwordx4 v[96:99], v0, s[4:5] offset:128
	global_load_dwordx4 v[2:5], v0, s[4:5] offset:240
	global_load_dwordx4 v[6:9], v0, s[4:5] offset:224
	global_load_dwordx4 v[88:91], v0, s[4:5] offset:208
	global_load_dwordx4 v[100:103], v0, s[4:5] offset:192
	global_load_dwordx4 v[22:25], v0, s[4:5] offset:304
	global_load_dwordx4 v[42:45], v0, s[4:5] offset:288
	global_load_dwordx4 v[60:63], v0, s[4:5] offset:272
	global_load_dwordx4 v[76:79], v0, s[4:5] offset:256
	global_load_dwordx4 v[18:21], v0, s[4:5] offset:368
	global_load_dwordx4 v[38:41], v0, s[4:5] offset:352
	global_load_dwordx4 v[54:57], v0, s[4:5] offset:336
	global_load_dwordx4 v[72:75], v0, s[4:5] offset:320
	global_load_dwordx4 v[14:17], v0, s[4:5] offset:432
	global_load_dwordx4 v[34:37], v0, s[4:5] offset:416
	global_load_dwordx4 v[50:53], v0, s[4:5] offset:400
	global_load_dwordx4 v[68:71], v0, s[4:5] offset:384
	global_load_dwordx4 v[10:13], v0, s[4:5] offset:496
	global_load_dwordx4 v[30:33], v0, s[4:5] offset:480
	global_load_dwordx4 v[46:49], v0, s[4:5] offset:464
	global_load_dwordx4 v[64:67], v0, s[4:5] offset:448
	s_waitcnt vmcnt(19)
	scratch_store_dwordx4 off, v[2:5], off offset:548 ; 16-byte Folded Spill
	s_waitcnt vmcnt(19)
	scratch_store_dwordx4 off, v[6:9], off offset:564 ; 16-byte Folded Spill
	;; [unrolled: 2-line block ×3, first 2 shown]
	scratch_store_dwordx4 off, v[14:17], off offset:596 ; 16-byte Folded Spill
	scratch_store_dwordx4 off, v[18:21], off offset:612 ; 16-byte Folded Spill
	scratch_store_dwordx4 off, v[22:25], off offset:628 ; 16-byte Folded Spill
	scratch_store_dwordx4 off, v[26:29], off offset:644 ; 16-byte Folded Spill
	s_waitcnt vmcnt(9)
	scratch_store_dwordx4 off, v[30:33], off offset:660 ; 16-byte Folded Spill
	scratch_store_dwordx4 off, v[34:37], off offset:676 ; 16-byte Folded Spill
	scratch_store_dwordx4 off, v[38:41], off offset:692 ; 16-byte Folded Spill
	scratch_store_dwordx4 off, v[42:45], off offset:708 ; 16-byte Folded Spill
	s_waitcnt vmcnt(12)
	;; [unrolled: 5-line block ×3, first 2 shown]
	scratch_store_dwordx4 off, v[64:67], off offset:788 ; 16-byte Folded Spill
	scratch_store_dwordx4 off, v[68:71], off offset:804 ; 16-byte Folded Spill
	;; [unrolled: 1-line block ×16, first 2 shown]
	s_cbranch_scc0 .LBB35_2
; %bb.1:
	scratch_store_dwordx4 off, v[112:115], off
	scratch_store_dwordx4 off, v[124:127], off offset:16
	scratch_store_dwordx4 off, v[120:123], off offset:32
	scratch_load_dwordx4 v[112:115], off, off offset:532 ; 16-byte Folded Reload
	v_and_b32_e32 v0, 32, v58
	v_cmp_eq_u32_e32 vcc, 0, v0
	v_lshlrev_b32_e32 v0, 3, v0
	v_mov_b32_e32 v59, 0x1f8
	s_waitcnt vmcnt(0)
	scratch_store_dwordx4 off, v[112:115], off offset:48
	scratch_store_dwordx4 off, v[116:119], off offset:64
	;; [unrolled: 1-line block ×29, first 2 shown]
	v_xor_b32_e32 v2, 0x100, v0
	scratch_load_dwordx2 v[0:1], v2, off
	v_and_b32_e32 v4, 64, v58
	v_xor_b32_e32 v3, 32, v58
	v_add_u32_e32 v4, 64, v4
	v_cmp_lt_i32_e64 s[0:1], v3, v4
	v_mov_b32_e32 v30, 0x108
	v_mov_b32_e32 v27, 0x110
	v_cndmask_b32_e64 v3, v58, v3, s[0:1]
	v_lshlrev_b32_e32 v54, 2, v3
	v_mov_b32_e32 v29, 0x118
	v_mov_b32_e32 v24, 0x120
	;; [unrolled: 1-line block ×48, first 2 shown]
	v_cndmask_b32_e32 v55, v33, v59, vcc
	s_waitcnt vmcnt(0)
	ds_bpermute_b32 v0, v54, v0
	ds_bpermute_b32 v1, v54, v1
	s_waitcnt lgkmcnt(0)
	scratch_store_dwordx2 v2, v[0:1], off
	v_cndmask_b32_e32 v2, 8, v30, vcc
	scratch_load_dwordx2 v[0:1], v2, off
	s_waitcnt vmcnt(0)
	ds_bpermute_b32 v0, v54, v0
	ds_bpermute_b32 v1, v54, v1
	s_waitcnt lgkmcnt(0)
	scratch_store_dwordx2 v2, v[0:1], off
	v_cndmask_b32_e32 v2, 16, v27, vcc
	scratch_load_dwordx2 v[0:1], v2, off
	;; [unrolled: 7-line block ×25, first 2 shown]
	s_waitcnt vmcnt(0)
	ds_bpermute_b32 v0, v54, v0
	ds_bpermute_b32 v1, v54, v1
	s_waitcnt lgkmcnt(0)
	scratch_store_dwordx2 v2, v[0:1], off
	v_mov_b32_e32 v2, 0x1d0
	v_cndmask_b32_e32 v3, v35, v2, vcc
	scratch_load_dwordx2 v[0:1], v3, off
	s_waitcnt vmcnt(0)
	ds_bpermute_b32 v0, v54, v0
	ds_bpermute_b32 v1, v54, v1
	s_waitcnt lgkmcnt(0)
	scratch_store_dwordx2 v3, v[0:1], off
	v_cndmask_b32_e32 v3, v36, v5, vcc
	scratch_load_dwordx2 v[0:1], v3, off
	s_waitcnt vmcnt(0)
	ds_bpermute_b32 v0, v54, v0
	ds_bpermute_b32 v1, v54, v1
	s_waitcnt lgkmcnt(0)
	scratch_store_dwordx2 v3, v[0:1], off
	v_mov_b32_e32 v1, 0x1e0
	v_cndmask_b32_e32 v0, v32, v1, vcc
	scratch_load_dwordx2 v[56:57], v0, off
	s_waitcnt vmcnt(0)
	ds_bpermute_b32 v56, v54, v56
	ds_bpermute_b32 v57, v54, v57
	s_waitcnt lgkmcnt(0)
	scratch_store_dwordx2 v0, v[56:57], off
	v_cndmask_b32_e32 v0, v34, v4, vcc
	scratch_load_dwordx2 v[56:57], v0, off
	s_waitcnt vmcnt(0)
	ds_bpermute_b32 v56, v54, v56
	ds_bpermute_b32 v57, v54, v57
	s_waitcnt lgkmcnt(0)
	scratch_store_dwordx2 v0, v[56:57], off
	v_mov_b32_e32 v0, 0x1f0
	v_cndmask_b32_e32 v3, v31, v0, vcc
	scratch_load_dwordx2 v[56:57], v3, off
	s_waitcnt vmcnt(0)
	ds_bpermute_b32 v56, v54, v56
	ds_bpermute_b32 v57, v54, v57
	s_waitcnt lgkmcnt(0)
	scratch_store_dwordx2 v3, v[56:57], off
	scratch_load_dwordx2 v[56:57], v55, off
	v_mov_b32_e32 v3, v58
	s_waitcnt vmcnt(0)
	ds_bpermute_b32 v56, v54, v56
	ds_bpermute_b32 v57, v54, v57
	v_and_b32_e32 v54, 16, v58
	v_cmp_eq_u32_e32 vcc, 0, v54
	v_lshlrev_b32_e32 v54, 3, v54
	s_waitcnt lgkmcnt(0)
	scratch_store_dwordx2 v55, v[56:57], off
	v_xor_b32_e32 v56, 0x80, v54
	scratch_load_dwordx2 v[54:55], v56, off
	s_waitcnt vmcnt(0)
	ds_swizzle_b32 v54, v54 offset:swizzle(SWAP,16)
	ds_swizzle_b32 v55, v55 offset:swizzle(SWAP,16)
	s_waitcnt lgkmcnt(0)
	scratch_store_dwordx2 v56, v[54:55], off
	v_cndmask_b32_e32 v56, 8, v45, vcc
	scratch_load_dwordx2 v[54:55], v56, off
	s_waitcnt vmcnt(0)
	ds_swizzle_b32 v54, v54 offset:swizzle(SWAP,16)
	ds_swizzle_b32 v55, v55 offset:swizzle(SWAP,16)
	s_waitcnt lgkmcnt(0)
	scratch_store_dwordx2 v56, v[54:55], off
	v_cndmask_b32_e32 v56, 16, v46, vcc
	;; [unrolled: 7-line block ×15, first 2 shown]
	scratch_load_dwordx2 v[54:55], v56, off
	s_waitcnt vmcnt(0)
	ds_swizzle_b32 v54, v54 offset:swizzle(SWAP,16)
	ds_swizzle_b32 v55, v55 offset:swizzle(SWAP,16)
	s_waitcnt lgkmcnt(0)
	scratch_store_dwordx2 v56, v[54:55], off
	v_mov_b32_e32 v54, 0x100
	v_cndmask_b32_e32 v55, v54, v14, vcc
	scratch_load_dwordx2 v[56:57], v55, off
	s_waitcnt vmcnt(0)
	ds_swizzle_b32 v56, v56 offset:swizzle(SWAP,16)
	ds_swizzle_b32 v57, v57 offset:swizzle(SWAP,16)
	s_waitcnt lgkmcnt(0)
	scratch_store_dwordx2 v55, v[56:57], off
	v_cndmask_b32_e32 v55, v30, v15, vcc
	scratch_load_dwordx2 v[56:57], v55, off
	s_waitcnt vmcnt(0)
	ds_swizzle_b32 v56, v56 offset:swizzle(SWAP,16)
	ds_swizzle_b32 v57, v57 offset:swizzle(SWAP,16)
	s_waitcnt lgkmcnt(0)
	scratch_store_dwordx2 v55, v[56:57], off
	;; [unrolled: 7-line block ×16, first 2 shown]
	v_and_b32_e32 v55, 8, v58
	v_cmp_eq_u32_e32 vcc, 0, v55
	v_lshlrev_b32_e32 v55, 3, v55
	v_xor_b32_e32 v55, 64, v55
	scratch_load_dwordx2 v[56:57], v55, off
	s_waitcnt vmcnt(0)
	ds_swizzle_b32 v56, v56 offset:swizzle(SWAP,8)
	ds_swizzle_b32 v57, v57 offset:swizzle(SWAP,8)
	s_waitcnt lgkmcnt(0)
	scratch_store_dwordx2 v55, v[56:57], off
	v_cndmask_b32_e32 v55, 8, v37, vcc
	scratch_load_dwordx2 v[56:57], v55, off
	s_waitcnt vmcnt(0)
	ds_swizzle_b32 v56, v56 offset:swizzle(SWAP,8)
	ds_swizzle_b32 v57, v57 offset:swizzle(SWAP,8)
	s_waitcnt lgkmcnt(0)
	scratch_store_dwordx2 v55, v[56:57], off
	v_cndmask_b32_e32 v55, 16, v38, vcc
	;; [unrolled: 7-line block ×31, first 2 shown]
	scratch_load_dwordx2 v[56:57], v55, off
	s_waitcnt vmcnt(0)
	ds_swizzle_b32 v56, v56 offset:swizzle(SWAP,8)
	ds_swizzle_b32 v57, v57 offset:swizzle(SWAP,8)
	s_waitcnt lgkmcnt(0)
	scratch_store_dwordx2 v55, v[56:57], off
	v_and_b32_e32 v55, 4, v58
	v_cmp_eq_u32_e32 vcc, 0, v55
	v_lshlrev_b32_e32 v55, 3, v55
	v_xor_b32_e32 v55, 32, v55
	scratch_load_dwordx2 v[56:57], v55, off
	s_waitcnt vmcnt(0)
	ds_swizzle_b32 v56, v56 offset:swizzle(SWAP,4)
	ds_swizzle_b32 v57, v57 offset:swizzle(SWAP,4)
	s_waitcnt lgkmcnt(0)
	scratch_store_dwordx2 v55, v[56:57], off
	v_cndmask_b32_e64 v55, 8, 40, vcc
	scratch_load_dwordx2 v[56:57], v55, off
	s_waitcnt vmcnt(0)
	ds_swizzle_b32 v56, v56 offset:swizzle(SWAP,4)
	ds_swizzle_b32 v57, v57 offset:swizzle(SWAP,4)
	s_waitcnt lgkmcnt(0)
	scratch_store_dwordx2 v55, v[56:57], off
	v_cndmask_b32_e64 v55, 16, 48, vcc
	scratch_load_dwordx2 v[56:57], v55, off
	s_waitcnt vmcnt(0)
	ds_swizzle_b32 v56, v56 offset:swizzle(SWAP,4)
	ds_swizzle_b32 v57, v57 offset:swizzle(SWAP,4)
	s_waitcnt lgkmcnt(0)
	scratch_store_dwordx2 v55, v[56:57], off
	v_cndmask_b32_e64 v55, 24, 56, vcc
	scratch_load_dwordx2 v[56:57], v55, off
	s_waitcnt vmcnt(0)
	ds_swizzle_b32 v56, v56 offset:swizzle(SWAP,4)
	ds_swizzle_b32 v57, v57 offset:swizzle(SWAP,4)
	s_waitcnt lgkmcnt(0)
	scratch_store_dwordx2 v55, v[56:57], off
	v_cndmask_b32_e32 v55, 64, v40, vcc
	scratch_load_dwordx2 v[56:57], v55, off
	s_waitcnt vmcnt(0)
	ds_swizzle_b32 v56, v56 offset:swizzle(SWAP,4)
	ds_swizzle_b32 v57, v57 offset:swizzle(SWAP,4)
	s_waitcnt lgkmcnt(0)
	scratch_store_dwordx2 v55, v[56:57], off
	v_cndmask_b32_e32 v55, v37, v41, vcc
	;; [unrolled: 7-line block ×28, first 2 shown]
	scratch_load_dwordx2 v[56:57], v55, off
	s_waitcnt vmcnt(0)
	ds_swizzle_b32 v56, v56 offset:swizzle(SWAP,4)
	ds_swizzle_b32 v57, v57 offset:swizzle(SWAP,4)
	s_waitcnt lgkmcnt(0)
	scratch_store_dwordx2 v55, v[56:57], off
	v_and_b32_e32 v55, 2, v58
	v_cmp_eq_u32_e32 vcc, 0, v55
	v_lshlrev_b32_e32 v55, 3, v55
	v_xor_b32_e32 v55, 16, v55
	scratch_load_dwordx2 v[56:57], v55, off
	s_waitcnt vmcnt(0)
	ds_swizzle_b32 v56, v56 offset:swizzle(SWAP,2)
	ds_swizzle_b32 v57, v57 offset:swizzle(SWAP,2)
	s_waitcnt lgkmcnt(0)
	scratch_store_dwordx2 v55, v[56:57], off
	v_cndmask_b32_e64 v55, 8, 24, vcc
	scratch_load_dwordx2 v[56:57], v55, off
	s_waitcnt vmcnt(0)
	ds_swizzle_b32 v56, v56 offset:swizzle(SWAP,2)
	ds_swizzle_b32 v57, v57 offset:swizzle(SWAP,2)
	s_waitcnt lgkmcnt(0)
	scratch_store_dwordx2 v55, v[56:57], off
	v_cndmask_b32_e64 v55, 32, 48, vcc
	;; [unrolled: 7-line block ×3, first 2 shown]
	scratch_load_dwordx2 v[56:57], v55, off
	s_waitcnt vmcnt(0)
	ds_swizzle_b32 v56, v56 offset:swizzle(SWAP,2)
	ds_swizzle_b32 v57, v57 offset:swizzle(SWAP,2)
	s_waitcnt lgkmcnt(0)
	scratch_store_dwordx2 v55, v[56:57], off
	v_cndmask_b32_e32 v55, 64, v38, vcc
	scratch_load_dwordx2 v[56:57], v55, off
	s_waitcnt vmcnt(0)
	ds_swizzle_b32 v56, v56 offset:swizzle(SWAP,2)
	ds_swizzle_b32 v57, v57 offset:swizzle(SWAP,2)
	s_waitcnt lgkmcnt(0)
	scratch_store_dwordx2 v55, v[56:57], off
	v_cndmask_b32_e32 v55, v37, v39, vcc
	;; [unrolled: 7-line block ×28, first 2 shown]
	scratch_load_dwordx2 v[56:57], v55, off
	s_waitcnt vmcnt(0)
	ds_swizzle_b32 v56, v56 offset:swizzle(SWAP,2)
	ds_swizzle_b32 v57, v57 offset:swizzle(SWAP,2)
	s_waitcnt lgkmcnt(0)
	scratch_store_dwordx2 v55, v[56:57], off
	v_and_b32_e32 v55, 1, v58
	v_cmp_eq_u32_e32 vcc, 0, v55
	v_lshlrev_b32_e32 v55, 3, v55
	v_xor_b32_e32 v55, 8, v55
	v_or_b32_e32 v55, 0, v55
	scratch_load_dwordx2 v[56:57], v55, off
	v_cndmask_b32_e32 v37, 64, v37, vcc
	v_cndmask_b32_e32 v35, v35, v36, vcc
	;; [unrolled: 1-line block ×13, first 2 shown]
	scratch_load_dwordx2 v[4:5], v1, off
	s_waitcnt vmcnt(1)
	ds_swizzle_b32 v56, v56 offset:swizzle(SWAP,1)
	ds_swizzle_b32 v57, v57 offset:swizzle(SWAP,1)
	s_waitcnt lgkmcnt(0)
	scratch_store_dwordx2 v55, v[56:57], off
	v_cndmask_b32_e64 v55, 16, 24, vcc
	scratch_load_dwordx2 v[56:57], v55, off
	s_waitcnt vmcnt(2)
	ds_swizzle_b32 v4, v4 offset:swizzle(SWAP,1)
	ds_swizzle_b32 v5, v5 offset:swizzle(SWAP,1)
	s_waitcnt lgkmcnt(0)
	scratch_store_dwordx2 v1, v[4:5], off
	s_waitcnt vmcnt(1)
	ds_swizzle_b32 v56, v56 offset:swizzle(SWAP,1)
	ds_swizzle_b32 v57, v57 offset:swizzle(SWAP,1)
	s_waitcnt lgkmcnt(0)
	scratch_store_dwordx2 v55, v[56:57], off
	v_cndmask_b32_e64 v55, 32, 40, vcc
	scratch_load_dwordx2 v[56:57], v55, off
	s_waitcnt vmcnt(0)
	ds_swizzle_b32 v56, v56 offset:swizzle(SWAP,1)
	ds_swizzle_b32 v57, v57 offset:swizzle(SWAP,1)
	s_waitcnt lgkmcnt(0)
	scratch_store_dwordx2 v55, v[56:57], off
	v_cndmask_b32_e64 v55, 48, 56, vcc
	scratch_load_dwordx2 v[56:57], v55, off
	s_waitcnt vmcnt(0)
	ds_swizzle_b32 v56, v56 offset:swizzle(SWAP,1)
	ds_swizzle_b32 v57, v57 offset:swizzle(SWAP,1)
	s_waitcnt lgkmcnt(0)
	scratch_store_dwordx2 v55, v[56:57], off
	scratch_load_dwordx2 v[56:57], v37, off
	s_waitcnt vmcnt(0)
	ds_swizzle_b32 v56, v56 offset:swizzle(SWAP,1)
	ds_swizzle_b32 v57, v57 offset:swizzle(SWAP,1)
	s_waitcnt lgkmcnt(0)
	scratch_store_dwordx2 v37, v[56:57], off
	v_cndmask_b32_e32 v37, v38, v39, vcc
	scratch_load_dwordx2 v[38:39], v37, off
	s_waitcnt vmcnt(0)
	ds_swizzle_b32 v38, v38 offset:swizzle(SWAP,1)
	ds_swizzle_b32 v39, v39 offset:swizzle(SWAP,1)
	s_waitcnt lgkmcnt(0)
	scratch_store_dwordx2 v37, v[38:39], off
	v_cndmask_b32_e32 v37, v40, v41, vcc
	;; [unrolled: 7-line block ×8, first 2 shown]
	scratch_load_dwordx2 v[38:39], v37, off
	s_waitcnt vmcnt(0)
	ds_swizzle_b32 v38, v38 offset:swizzle(SWAP,1)
	ds_swizzle_b32 v39, v39 offset:swizzle(SWAP,1)
	s_waitcnt lgkmcnt(0)
	scratch_store_dwordx2 v37, v[38:39], off
	scratch_load_dwordx2 v[36:37], v35, off
	s_waitcnt vmcnt(0)
	ds_swizzle_b32 v36, v36 offset:swizzle(SWAP,1)
	ds_swizzle_b32 v37, v37 offset:swizzle(SWAP,1)
	s_waitcnt lgkmcnt(0)
	scratch_store_dwordx2 v35, v[36:37], off
	;; [unrolled: 6-line block ×4, first 2 shown]
	v_cndmask_b32_e32 v32, v54, v30, vcc
	scratch_load_dwordx2 v[30:31], v32, off
	s_waitcnt vmcnt(0)
	ds_swizzle_b32 v30, v30 offset:swizzle(SWAP,1)
	ds_swizzle_b32 v31, v31 offset:swizzle(SWAP,1)
	s_waitcnt lgkmcnt(0)
	scratch_store_dwordx2 v32, v[30:31], off
	scratch_load_dwordx2 v[30:31], v27, off
	s_waitcnt vmcnt(0)
	ds_swizzle_b32 v30, v30 offset:swizzle(SWAP,1)
	ds_swizzle_b32 v31, v31 offset:swizzle(SWAP,1)
	s_waitcnt lgkmcnt(0)
	scratch_store_dwordx2 v27, v[30:31], off
	;; [unrolled: 6-line block ×3, first 2 shown]
	v_cndmask_b32_e32 v26, v25, v28, vcc
	scratch_load_dwordx2 v[24:25], v26, off
	s_waitcnt vmcnt(0)
	ds_swizzle_b32 v24, v24 offset:swizzle(SWAP,1)
	ds_swizzle_b32 v25, v25 offset:swizzle(SWAP,1)
	s_waitcnt lgkmcnt(0)
	scratch_store_dwordx2 v26, v[24:25], off
	v_cndmask_b32_e32 v24, v22, v23, vcc
	scratch_load_dwordx2 v[22:23], v24, off
	s_waitcnt vmcnt(0)
	ds_swizzle_b32 v22, v22 offset:swizzle(SWAP,1)
	ds_swizzle_b32 v23, v23 offset:swizzle(SWAP,1)
	s_waitcnt lgkmcnt(0)
	scratch_store_dwordx2 v24, v[22:23], off
	scratch_load_dwordx2 v[22:23], v17, off
	s_waitcnt vmcnt(0)
	ds_swizzle_b32 v22, v22 offset:swizzle(SWAP,1)
	ds_swizzle_b32 v23, v23 offset:swizzle(SWAP,1)
	s_waitcnt lgkmcnt(0)
	scratch_store_dwordx2 v17, v[22:23], off
	;; [unrolled: 6-line block ×4, first 2 shown]
	v_cndmask_b32_e32 v16, v14, v15, vcc
	scratch_load_dwordx2 v[14:15], v16, off
	s_waitcnt vmcnt(0)
	ds_swizzle_b32 v14, v14 offset:swizzle(SWAP,1)
	ds_swizzle_b32 v15, v15 offset:swizzle(SWAP,1)
	s_waitcnt lgkmcnt(0)
	scratch_store_dwordx2 v16, v[14:15], off
	v_cndmask_b32_e32 v14, v12, v13, vcc
	scratch_load_dwordx2 v[12:13], v14, off
	s_waitcnt vmcnt(0)
	ds_swizzle_b32 v12, v12 offset:swizzle(SWAP,1)
	ds_swizzle_b32 v13, v13 offset:swizzle(SWAP,1)
	s_waitcnt lgkmcnt(0)
	scratch_store_dwordx2 v14, v[12:13], off
	scratch_load_dwordx2 v[12:13], v9, off
	s_waitcnt vmcnt(0)
	ds_swizzle_b32 v12, v12 offset:swizzle(SWAP,1)
	ds_swizzle_b32 v13, v13 offset:swizzle(SWAP,1)
	s_waitcnt lgkmcnt(0)
	scratch_store_dwordx2 v9, v[12:13], off
	;; [unrolled: 6-line block ×3, first 2 shown]
	v_cndmask_b32_e32 v8, v6, v7, vcc
	scratch_load_dwordx2 v[6:7], v8, off
	s_waitcnt vmcnt(0)
	ds_swizzle_b32 v6, v6 offset:swizzle(SWAP,1)
	ds_swizzle_b32 v7, v7 offset:swizzle(SWAP,1)
	s_waitcnt lgkmcnt(0)
	scratch_store_dwordx2 v8, v[6:7], off
	scratch_load_dwordx2 v[6:7], v2, off
	s_waitcnt vmcnt(0)
	ds_swizzle_b32 v6, v6 offset:swizzle(SWAP,1)
	ds_swizzle_b32 v7, v7 offset:swizzle(SWAP,1)
	s_waitcnt lgkmcnt(0)
	scratch_store_dwordx2 v2, v[6:7], off
	v_cndmask_b32_e32 v2, v0, v59, vcc
	scratch_load_dwordx2 v[0:1], v2, off
	s_waitcnt vmcnt(0)
	ds_swizzle_b32 v0, v0 offset:swizzle(SWAP,1)
	ds_swizzle_b32 v1, v1 offset:swizzle(SWAP,1)
	s_waitcnt lgkmcnt(0)
	scratch_store_dwordx2 v2, v[0:1], off
	scratch_load_dwordx4 v[44:47], off, off
	scratch_load_dwordx4 v[52:55], off, off offset:16
	scratch_load_dwordx4 v[48:51], off, off offset:32
	;; [unrolled: 1-line block ×13, first 2 shown]
	s_waitcnt vmcnt(0)
	scratch_store_dwordx4 off, v[56:59], off offset:512 ; 16-byte Folded Spill
	scratch_load_dwordx4 v[56:59], off, off offset:224
	s_nop 0
	scratch_load_dwordx4 v[60:63], off, off offset:240
	scratch_load_dwordx4 v[64:67], off, off offset:256
	;; [unrolled: 1-line block ×17, first 2 shown]
	s_cbranch_execz .LBB35_3
	s_branch .LBB35_4
.LBB35_2:
	v_mov_b32_e32 v3, v58
                                        ; implicit-def: $vgpr122_vgpr123
                                        ; implicit-def: $vgpr126_vgpr127
                                        ; implicit-def: $vgpr118_vgpr119
                                        ; implicit-def: $vgpr114_vgpr115
                                        ; implicit-def: $vgpr110_vgpr111
                                        ; implicit-def: $vgpr106_vgpr107
                                        ; implicit-def: $vgpr102_vgpr103
                                        ; implicit-def: $vgpr98_vgpr99
                                        ; implicit-def: $vgpr94_vgpr95
                                        ; implicit-def: $vgpr90_vgpr91
                                        ; implicit-def: $vgpr86_vgpr87
                                        ; implicit-def: $vgpr82_vgpr83
                                        ; implicit-def: $vgpr78_vgpr79
                                        ; implicit-def: $vgpr74_vgpr75
                                        ; implicit-def: $vgpr70_vgpr71
                                        ; implicit-def: $vgpr66_vgpr67
                                        ; implicit-def: $vgpr62_vgpr63
                                        ; implicit-def: $vgpr58_vgpr59
                                        ; implicit-def: $vgpr4_vgpr5
	scratch_store_dwordx4 off, v[2:5], off offset:512 ; 16-byte Folded Spill
                                        ; implicit-def: $vgpr6_vgpr7
                                        ; implicit-def: $vgpr10_vgpr11
                                        ; implicit-def: $vgpr14_vgpr15
                                        ; implicit-def: $vgpr18_vgpr19
                                        ; implicit-def: $vgpr22_vgpr23
                                        ; implicit-def: $vgpr26_vgpr27
                                        ; implicit-def: $vgpr30_vgpr31
                                        ; implicit-def: $vgpr34_vgpr35
                                        ; implicit-def: $vgpr38_vgpr39
                                        ; implicit-def: $vgpr42_vgpr43
                                        ; implicit-def: $vgpr50_vgpr51
                                        ; implicit-def: $vgpr54_vgpr55
                                        ; implicit-def: $vgpr46_vgpr47
.LBB35_3:
	scratch_load_dwordx4 v[4:7], off, off offset:1028 ; 16-byte Folded Reload
	s_waitcnt vmcnt(18)
	v_mov_b32_e32 v58, v3
	v_and_b32_e32 v0, 32, v58
	v_cmp_eq_u32_e32 vcc, 0, v0
	v_lshlrev_b32_e32 v0, 3, v0
	v_xor_b32_e32 v2, 0x100, v0
	v_xor_b32_e32 v3, 32, v58
	v_mov_b32_e32 v12, 0x108
	v_mov_b32_e32 v8, 0x128
	;; [unrolled: 1-line block ×45, first 2 shown]
	s_waitcnt vmcnt(0)
	scratch_store_dwordx4 off, v[4:7], off
	scratch_load_dwordx4 v[4:7], off, off offset:1012 ; 16-byte Folded Reload
	s_waitcnt vmcnt(0)
	scratch_store_dwordx4 off, v[4:7], off offset:16
	scratch_load_dwordx4 v[4:7], off, off offset:996 ; 16-byte Folded Reload
	s_waitcnt vmcnt(0)
	scratch_store_dwordx4 off, v[4:7], off offset:32
	;; [unrolled: 3-line block ×16, first 2 shown]
	scratch_load_dwordx4 v[4:7], off, off offset:772 ; 16-byte Folded Reload
	s_nop 0
	scratch_load_dwordx2 v[0:1], v2, off
	s_waitcnt vmcnt(1)
	scratch_store_dwordx4 off, v[4:7], off offset:272
	scratch_load_dwordx4 v[4:7], off, off offset:708 ; 16-byte Folded Reload
	s_waitcnt vmcnt(0)
	scratch_store_dwordx4 off, v[4:7], off offset:288
	scratch_load_dwordx4 v[4:7], off, off offset:628 ; 16-byte Folded Reload
	;; [unrolled: 3-line block ×14, first 2 shown]
	s_waitcnt vmcnt(0)
	scratch_store_dwordx4 off, v[4:7], off offset:496
	s_nop 1
	v_and_b32_e32 v4, 64, v58
	v_add_u32_e32 v4, 64, v4
	v_cmp_lt_i32_e64 s[0:1], v3, v4
	v_mov_b32_e32 v7, 0x118
	v_mov_b32_e32 v5, 0x120
	v_cndmask_b32_e64 v3, v58, v3, s[0:1]
	v_lshlrev_b32_e32 v54, 2, v3
	ds_bpermute_b32 v0, v54, v0
	ds_bpermute_b32 v1, v54, v1
	v_mov_b32_e32 v3, 0x110
	v_mov_b32_e32 v6, 0x130
	s_waitcnt lgkmcnt(0)
	scratch_store_dwordx2 v2, v[0:1], off
	v_cndmask_b32_e32 v2, 8, v12, vcc
	scratch_load_dwordx2 v[0:1], v2, off
	s_waitcnt vmcnt(0)
	ds_bpermute_b32 v0, v54, v0
	ds_bpermute_b32 v1, v54, v1
	s_waitcnt lgkmcnt(0)
	scratch_store_dwordx2 v2, v[0:1], off
	v_cndmask_b32_e32 v2, 16, v3, vcc
	scratch_load_dwordx2 v[0:1], v2, off
	s_waitcnt vmcnt(0)
	ds_bpermute_b32 v0, v54, v0
	ds_bpermute_b32 v1, v54, v1
	;; [unrolled: 7-line block ×27, first 2 shown]
	s_waitcnt lgkmcnt(0)
	scratch_store_dwordx2 v2, v[0:1], off
	v_mov_b32_e32 v2, 0x1e0
	v_cndmask_b32_e32 v4, v33, v2, vcc
	scratch_load_dwordx2 v[0:1], v4, off
	s_waitcnt vmcnt(0)
	ds_bpermute_b32 v0, v54, v0
	ds_bpermute_b32 v1, v54, v1
	s_waitcnt lgkmcnt(0)
	scratch_store_dwordx2 v4, v[0:1], off
	v_mov_b32_e32 v4, 0x1e8
	v_cndmask_b32_e32 v31, v34, v4, vcc
	scratch_load_dwordx2 v[0:1], v31, off
	s_waitcnt vmcnt(0)
	ds_bpermute_b32 v0, v54, v0
	ds_bpermute_b32 v1, v54, v1
	s_waitcnt lgkmcnt(0)
	scratch_store_dwordx2 v31, v[0:1], off
	v_mov_b32_e32 v31, 0xf0
	v_mov_b32_e32 v0, 0x1f0
	v_cndmask_b32_e32 v1, v31, v0, vcc
	scratch_load_dwordx2 v[56:57], v1, off
	s_waitcnt vmcnt(0)
	ds_bpermute_b32 v56, v54, v56
	ds_bpermute_b32 v57, v54, v57
	s_waitcnt lgkmcnt(0)
	scratch_store_dwordx2 v1, v[56:57], off
	v_mov_b32_e32 v1, 0x1f8
	v_cndmask_b32_e32 v55, v32, v1, vcc
	scratch_load_dwordx2 v[56:57], v55, off
	s_waitcnt vmcnt(0)
	ds_bpermute_b32 v56, v54, v56
	ds_bpermute_b32 v57, v54, v57
	v_and_b32_e32 v54, 16, v58
	v_cmp_eq_u32_e32 vcc, 0, v54
	v_lshlrev_b32_e32 v54, 3, v54
	s_waitcnt lgkmcnt(0)
	scratch_store_dwordx2 v55, v[56:57], off
	v_xor_b32_e32 v56, 0x80, v54
	scratch_load_dwordx2 v[54:55], v56, off
	s_waitcnt vmcnt(0)
	ds_swizzle_b32 v54, v54 offset:swizzle(SWAP,16)
	ds_swizzle_b32 v55, v55 offset:swizzle(SWAP,16)
	s_waitcnt lgkmcnt(0)
	scratch_store_dwordx2 v56, v[54:55], off
	v_cndmask_b32_e32 v56, 8, v39, vcc
	scratch_load_dwordx2 v[54:55], v56, off
	s_waitcnt vmcnt(0)
	ds_swizzle_b32 v54, v54 offset:swizzle(SWAP,16)
	ds_swizzle_b32 v55, v55 offset:swizzle(SWAP,16)
	s_waitcnt lgkmcnt(0)
	scratch_store_dwordx2 v56, v[54:55], off
	v_cndmask_b32_e32 v56, 16, v40, vcc
	;; [unrolled: 7-line block ×15, first 2 shown]
	scratch_load_dwordx2 v[54:55], v56, off
	s_waitcnt vmcnt(0)
	ds_swizzle_b32 v54, v54 offset:swizzle(SWAP,16)
	ds_swizzle_b32 v55, v55 offset:swizzle(SWAP,16)
	s_waitcnt lgkmcnt(0)
	scratch_store_dwordx2 v56, v[54:55], off
	v_mov_b32_e32 v54, 0x100
	v_cndmask_b32_e32 v55, v54, v25, vcc
	scratch_load_dwordx2 v[56:57], v55, off
	s_waitcnt vmcnt(0)
	ds_swizzle_b32 v56, v56 offset:swizzle(SWAP,16)
	ds_swizzle_b32 v57, v57 offset:swizzle(SWAP,16)
	s_waitcnt lgkmcnt(0)
	scratch_store_dwordx2 v55, v[56:57], off
	v_cndmask_b32_e32 v55, v12, v30, vcc
	scratch_load_dwordx2 v[56:57], v55, off
	s_waitcnt vmcnt(0)
	ds_swizzle_b32 v56, v56 offset:swizzle(SWAP,16)
	ds_swizzle_b32 v57, v57 offset:swizzle(SWAP,16)
	s_waitcnt lgkmcnt(0)
	scratch_store_dwordx2 v55, v[56:57], off
	;; [unrolled: 7-line block ×16, first 2 shown]
	v_and_b32_e32 v55, 8, v58
	v_cmp_eq_u32_e32 vcc, 0, v55
	v_lshlrev_b32_e32 v55, 3, v55
	v_xor_b32_e32 v55, 64, v55
	scratch_load_dwordx2 v[56:57], v55, off
	s_waitcnt vmcnt(0)
	ds_swizzle_b32 v56, v56 offset:swizzle(SWAP,8)
	ds_swizzle_b32 v57, v57 offset:swizzle(SWAP,8)
	s_waitcnt lgkmcnt(0)
	scratch_store_dwordx2 v55, v[56:57], off
	v_cndmask_b32_e32 v55, 8, v53, vcc
	scratch_load_dwordx2 v[56:57], v55, off
	s_waitcnt vmcnt(0)
	ds_swizzle_b32 v56, v56 offset:swizzle(SWAP,8)
	ds_swizzle_b32 v57, v57 offset:swizzle(SWAP,8)
	s_waitcnt lgkmcnt(0)
	scratch_store_dwordx2 v55, v[56:57], off
	v_cndmask_b32_e32 v55, 16, v50, vcc
	;; [unrolled: 7-line block ×31, first 2 shown]
	scratch_load_dwordx2 v[56:57], v55, off
	s_waitcnt vmcnt(0)
	ds_swizzle_b32 v56, v56 offset:swizzle(SWAP,8)
	ds_swizzle_b32 v57, v57 offset:swizzle(SWAP,8)
	s_waitcnt lgkmcnt(0)
	scratch_store_dwordx2 v55, v[56:57], off
	v_and_b32_e32 v55, 4, v58
	v_cmp_eq_u32_e32 vcc, 0, v55
	v_lshlrev_b32_e32 v55, 3, v55
	v_xor_b32_e32 v55, 32, v55
	scratch_load_dwordx2 v[56:57], v55, off
	s_waitcnt vmcnt(0)
	ds_swizzle_b32 v56, v56 offset:swizzle(SWAP,4)
	ds_swizzle_b32 v57, v57 offset:swizzle(SWAP,4)
	s_waitcnt lgkmcnt(0)
	scratch_store_dwordx2 v55, v[56:57], off
	v_cndmask_b32_e64 v55, 8, 40, vcc
	scratch_load_dwordx2 v[56:57], v55, off
	s_waitcnt vmcnt(0)
	ds_swizzle_b32 v56, v56 offset:swizzle(SWAP,4)
	ds_swizzle_b32 v57, v57 offset:swizzle(SWAP,4)
	s_waitcnt lgkmcnt(0)
	scratch_store_dwordx2 v55, v[56:57], off
	v_cndmask_b32_e64 v55, 16, 48, vcc
	;; [unrolled: 7-line block ×3, first 2 shown]
	scratch_load_dwordx2 v[56:57], v55, off
	s_waitcnt vmcnt(0)
	ds_swizzle_b32 v56, v56 offset:swizzle(SWAP,4)
	ds_swizzle_b32 v57, v57 offset:swizzle(SWAP,4)
	s_waitcnt lgkmcnt(0)
	scratch_store_dwordx2 v55, v[56:57], off
	v_cndmask_b32_e32 v55, 64, v44, vcc
	scratch_load_dwordx2 v[56:57], v55, off
	s_waitcnt vmcnt(0)
	ds_swizzle_b32 v56, v56 offset:swizzle(SWAP,4)
	ds_swizzle_b32 v57, v57 offset:swizzle(SWAP,4)
	s_waitcnt lgkmcnt(0)
	scratch_store_dwordx2 v55, v[56:57], off
	v_cndmask_b32_e32 v55, v53, v49, vcc
	;; [unrolled: 7-line block ×28, first 2 shown]
	scratch_load_dwordx2 v[56:57], v55, off
	s_waitcnt vmcnt(0)
	ds_swizzle_b32 v56, v56 offset:swizzle(SWAP,4)
	ds_swizzle_b32 v57, v57 offset:swizzle(SWAP,4)
	s_waitcnt lgkmcnt(0)
	scratch_store_dwordx2 v55, v[56:57], off
	v_and_b32_e32 v55, 2, v58
	v_cmp_eq_u32_e32 vcc, 0, v55
	v_lshlrev_b32_e32 v55, 3, v55
	v_xor_b32_e32 v55, 16, v55
	scratch_load_dwordx2 v[56:57], v55, off
	s_waitcnt vmcnt(0)
	ds_swizzle_b32 v56, v56 offset:swizzle(SWAP,2)
	ds_swizzle_b32 v57, v57 offset:swizzle(SWAP,2)
	s_waitcnt lgkmcnt(0)
	scratch_store_dwordx2 v55, v[56:57], off
	v_cndmask_b32_e64 v55, 8, 24, vcc
	scratch_load_dwordx2 v[56:57], v55, off
	s_waitcnt vmcnt(0)
	ds_swizzle_b32 v56, v56 offset:swizzle(SWAP,2)
	ds_swizzle_b32 v57, v57 offset:swizzle(SWAP,2)
	s_waitcnt lgkmcnt(0)
	scratch_store_dwordx2 v55, v[56:57], off
	v_cndmask_b32_e64 v55, 32, 48, vcc
	scratch_load_dwordx2 v[56:57], v55, off
	s_waitcnt vmcnt(0)
	ds_swizzle_b32 v56, v56 offset:swizzle(SWAP,2)
	ds_swizzle_b32 v57, v57 offset:swizzle(SWAP,2)
	s_waitcnt lgkmcnt(0)
	scratch_store_dwordx2 v55, v[56:57], off
	v_cndmask_b32_e64 v55, 40, 56, vcc
	scratch_load_dwordx2 v[56:57], v55, off
	s_waitcnt vmcnt(0)
	ds_swizzle_b32 v56, v56 offset:swizzle(SWAP,2)
	ds_swizzle_b32 v57, v57 offset:swizzle(SWAP,2)
	s_waitcnt lgkmcnt(0)
	scratch_store_dwordx2 v55, v[56:57], off
	v_cndmask_b32_e32 v55, 64, v50, vcc
	scratch_load_dwordx2 v[56:57], v55, off
	s_waitcnt vmcnt(0)
	ds_swizzle_b32 v56, v56 offset:swizzle(SWAP,2)
	ds_swizzle_b32 v57, v57 offset:swizzle(SWAP,2)
	s_waitcnt lgkmcnt(0)
	scratch_store_dwordx2 v55, v[56:57], off
	v_cndmask_b32_e32 v55, v53, v52, vcc
	;; [unrolled: 7-line block ×28, first 2 shown]
	scratch_load_dwordx2 v[56:57], v55, off
	s_waitcnt vmcnt(0)
	ds_swizzle_b32 v56, v56 offset:swizzle(SWAP,2)
	ds_swizzle_b32 v57, v57 offset:swizzle(SWAP,2)
	s_waitcnt lgkmcnt(0)
	scratch_store_dwordx2 v55, v[56:57], off
	v_and_b32_e32 v55, 1, v58
	v_cmp_eq_u32_e32 vcc, 0, v55
	v_lshlrev_b32_e32 v55, 3, v55
	v_xor_b32_e32 v55, 8, v55
	v_or_b32_e32 v55, 0, v55
	scratch_load_dwordx2 v[56:57], v55, off
	v_cndmask_b32_e32 v53, 64, v53, vcc
	v_cndmask_b32_e32 v50, v50, v52, vcc
	;; [unrolled: 1-line block ×11, first 2 shown]
	s_waitcnt vmcnt(0)
	ds_swizzle_b32 v56, v56 offset:swizzle(SWAP,1)
	ds_swizzle_b32 v57, v57 offset:swizzle(SWAP,1)
	s_waitcnt lgkmcnt(0)
	scratch_store_dwordx2 v55, v[56:57], off
	v_cndmask_b32_e64 v55, 16, 24, vcc
	scratch_load_dwordx2 v[56:57], v55, off
	s_waitcnt vmcnt(0)
	ds_swizzle_b32 v56, v56 offset:swizzle(SWAP,1)
	ds_swizzle_b32 v57, v57 offset:swizzle(SWAP,1)
	s_waitcnt lgkmcnt(0)
	scratch_store_dwordx2 v55, v[56:57], off
	v_cndmask_b32_e64 v55, 32, 40, vcc
	scratch_load_dwordx2 v[56:57], v55, off
	;; [unrolled: 7-line block ×3, first 2 shown]
	s_waitcnt vmcnt(0)
	ds_swizzle_b32 v56, v56 offset:swizzle(SWAP,1)
	ds_swizzle_b32 v57, v57 offset:swizzle(SWAP,1)
	s_waitcnt lgkmcnt(0)
	scratch_store_dwordx2 v55, v[56:57], off
	scratch_load_dwordx2 v[56:57], v53, off
	s_waitcnt vmcnt(0)
	ds_swizzle_b32 v56, v56 offset:swizzle(SWAP,1)
	ds_swizzle_b32 v57, v57 offset:swizzle(SWAP,1)
	s_waitcnt lgkmcnt(0)
	scratch_store_dwordx2 v53, v[56:57], off
	scratch_load_dwordx2 v[52:53], v50, off
	;; [unrolled: 6-line block ×5, first 2 shown]
	s_waitcnt vmcnt(0)
	ds_swizzle_b32 v38, v38 offset:swizzle(SWAP,1)
	ds_swizzle_b32 v39, v39 offset:swizzle(SWAP,1)
	s_waitcnt lgkmcnt(0)
	scratch_store_dwordx2 v37, v[38:39], off
	v_cndmask_b32_e32 v37, v40, v41, vcc
	scratch_load_dwordx2 v[38:39], v37, off
	s_waitcnt vmcnt(0)
	ds_swizzle_b32 v38, v38 offset:swizzle(SWAP,1)
	ds_swizzle_b32 v39, v39 offset:swizzle(SWAP,1)
	s_waitcnt lgkmcnt(0)
	scratch_store_dwordx2 v37, v[38:39], off
	v_cndmask_b32_e32 v37, v42, v45, vcc
	scratch_load_dwordx2 v[38:39], v37, off
	s_waitcnt vmcnt(0)
	ds_swizzle_b32 v38, v38 offset:swizzle(SWAP,1)
	ds_swizzle_b32 v39, v39 offset:swizzle(SWAP,1)
	s_waitcnt lgkmcnt(0)
	scratch_store_dwordx2 v37, v[38:39], off
	v_cndmask_b32_e32 v37, v46, v47, vcc
	scratch_load_dwordx2 v[38:39], v37, off
	s_waitcnt vmcnt(0)
	ds_swizzle_b32 v38, v38 offset:swizzle(SWAP,1)
	ds_swizzle_b32 v39, v39 offset:swizzle(SWAP,1)
	s_waitcnt lgkmcnt(0)
	scratch_store_dwordx2 v37, v[38:39], off
	v_cndmask_b32_e32 v37, v48, v51, vcc
	scratch_load_dwordx2 v[38:39], v37, off
	s_waitcnt vmcnt(0)
	ds_swizzle_b32 v38, v38 offset:swizzle(SWAP,1)
	ds_swizzle_b32 v39, v39 offset:swizzle(SWAP,1)
	s_waitcnt lgkmcnt(0)
	scratch_store_dwordx2 v37, v[38:39], off
	scratch_load_dwordx2 v[36:37], v35, off
	s_waitcnt vmcnt(0)
	ds_swizzle_b32 v36, v36 offset:swizzle(SWAP,1)
	ds_swizzle_b32 v37, v37 offset:swizzle(SWAP,1)
	s_waitcnt lgkmcnt(0)
	scratch_store_dwordx2 v35, v[36:37], off
	scratch_load_dwordx2 v[34:35], v33, off
	;; [unrolled: 6-line block ×5, first 2 shown]
	s_waitcnt vmcnt(0)
	ds_swizzle_b32 v32, v32 offset:swizzle(SWAP,1)
	ds_swizzle_b32 v33, v33 offset:swizzle(SWAP,1)
	s_waitcnt lgkmcnt(0)
	scratch_store_dwordx2 v3, v[32:33], off
	v_cndmask_b32_e32 v3, v5, v8, vcc
	scratch_load_dwordx2 v[32:33], v3, off
	s_waitcnt vmcnt(0)
	ds_swizzle_b32 v32, v32 offset:swizzle(SWAP,1)
	ds_swizzle_b32 v33, v33 offset:swizzle(SWAP,1)
	s_waitcnt lgkmcnt(0)
	scratch_store_dwordx2 v3, v[32:33], off
	v_cndmask_b32_e32 v3, v6, v11, vcc
	scratch_load_dwordx2 v[6:7], v3, off
	;; [unrolled: 7-line block ×12, first 2 shown]
	s_waitcnt vmcnt(0)
	ds_swizzle_b32 v6, v6 offset:swizzle(SWAP,1)
	ds_swizzle_b32 v7, v7 offset:swizzle(SWAP,1)
	s_waitcnt lgkmcnt(0)
	scratch_store_dwordx2 v3, v[6:7], off
	scratch_load_dwordx2 v[2:3], v4, off
	s_waitcnt vmcnt(0)
	ds_swizzle_b32 v2, v2 offset:swizzle(SWAP,1)
	ds_swizzle_b32 v3, v3 offset:swizzle(SWAP,1)
	s_waitcnt lgkmcnt(0)
	scratch_store_dwordx2 v4, v[2:3], off
	v_cndmask_b32_e32 v2, v0, v1, vcc
	scratch_load_dwordx2 v[0:1], v2, off
	s_waitcnt vmcnt(0)
	ds_swizzle_b32 v0, v0 offset:swizzle(SWAP,1)
	ds_swizzle_b32 v1, v1 offset:swizzle(SWAP,1)
	s_waitcnt lgkmcnt(0)
	scratch_store_dwordx2 v2, v[0:1], off
	scratch_load_dwordx4 v[44:47], off, off
	scratch_load_dwordx4 v[52:55], off, off offset:16
	scratch_load_dwordx4 v[48:51], off, off offset:32
	;; [unrolled: 1-line block ×13, first 2 shown]
	s_waitcnt vmcnt(0)
	scratch_store_dwordx4 off, v[0:3], off offset:512 ; 16-byte Folded Spill
	scratch_load_dwordx4 v[56:59], off, off offset:224
	scratch_load_dwordx4 v[60:63], off, off offset:240
	;; [unrolled: 1-line block ×18, first 2 shown]
.LBB35_4:
	scratch_load_dword v0, off, off offset:528 ; 4-byte Folded Reload
	s_waitcnt vmcnt(0)
	v_lshlrev_b32_e32 v0, 3, v0
	global_store_dwordx4 v0, v[44:47], s[6:7]
	global_store_dwordx4 v0, v[52:55], s[6:7] offset:16
	global_store_dwordx4 v0, v[48:51], s[6:7] offset:32
	;; [unrolled: 1-line block ×12, first 2 shown]
	scratch_load_dwordx4 v[2:5], off, off offset:512 ; 16-byte Folded Reload
	s_waitcnt vmcnt(0)
	global_store_dwordx4 v0, v[2:5], s[6:7] offset:208
	global_store_dwordx4 v0, v[56:59], s[6:7] offset:224
	;; [unrolled: 1-line block ×19, first 2 shown]
	s_endpgm
	.section	.rodata,"a",@progbits
	.p2align	6, 0x0
	.amdhsa_kernel _Z20warp_exchange_kernelILj64ELj64EN6common25BlockedToStripedShuffleOpEdEvPT2_S3_b
		.amdhsa_group_segment_fixed_size 0
		.amdhsa_private_segment_fixed_size 1056
		.amdhsa_kernarg_size 20
		.amdhsa_user_sgpr_count 2
		.amdhsa_user_sgpr_dispatch_ptr 0
		.amdhsa_user_sgpr_queue_ptr 0
		.amdhsa_user_sgpr_kernarg_segment_ptr 1
		.amdhsa_user_sgpr_dispatch_id 0
		.amdhsa_user_sgpr_kernarg_preload_length 0
		.amdhsa_user_sgpr_kernarg_preload_offset 0
		.amdhsa_user_sgpr_private_segment_size 0
		.amdhsa_uses_dynamic_stack 0
		.amdhsa_enable_private_segment 1
		.amdhsa_system_sgpr_workgroup_id_x 1
		.amdhsa_system_sgpr_workgroup_id_y 0
		.amdhsa_system_sgpr_workgroup_id_z 0
		.amdhsa_system_sgpr_workgroup_info 0
		.amdhsa_system_vgpr_workitem_id 0
		.amdhsa_next_free_vgpr 128
		.amdhsa_next_free_sgpr 8
		.amdhsa_accum_offset 128
		.amdhsa_reserve_vcc 1
		.amdhsa_float_round_mode_32 0
		.amdhsa_float_round_mode_16_64 0
		.amdhsa_float_denorm_mode_32 3
		.amdhsa_float_denorm_mode_16_64 3
		.amdhsa_dx10_clamp 1
		.amdhsa_ieee_mode 1
		.amdhsa_fp16_overflow 0
		.amdhsa_tg_split 0
		.amdhsa_exception_fp_ieee_invalid_op 0
		.amdhsa_exception_fp_denorm_src 0
		.amdhsa_exception_fp_ieee_div_zero 0
		.amdhsa_exception_fp_ieee_overflow 0
		.amdhsa_exception_fp_ieee_underflow 0
		.amdhsa_exception_fp_ieee_inexact 0
		.amdhsa_exception_int_div_zero 0
	.end_amdhsa_kernel
	.section	.text._Z20warp_exchange_kernelILj64ELj64EN6common25BlockedToStripedShuffleOpEdEvPT2_S3_b,"axG",@progbits,_Z20warp_exchange_kernelILj64ELj64EN6common25BlockedToStripedShuffleOpEdEvPT2_S3_b,comdat
.Lfunc_end35:
	.size	_Z20warp_exchange_kernelILj64ELj64EN6common25BlockedToStripedShuffleOpEdEvPT2_S3_b, .Lfunc_end35-_Z20warp_exchange_kernelILj64ELj64EN6common25BlockedToStripedShuffleOpEdEvPT2_S3_b
                                        ; -- End function
	.section	.AMDGPU.csdata,"",@progbits
; Kernel info:
; codeLenInByte = 20452
; NumSgprs: 14
; NumVgprs: 128
; NumAgprs: 0
; TotalNumVgprs: 128
; ScratchSize: 1056
; MemoryBound: 1
; FloatMode: 240
; IeeeMode: 1
; LDSByteSize: 0 bytes/workgroup (compile time only)
; SGPRBlocks: 1
; VGPRBlocks: 15
; NumSGPRsForWavesPerEU: 14
; NumVGPRsForWavesPerEU: 128
; AccumOffset: 128
; Occupancy: 4
; WaveLimiterHint : 0
; COMPUTE_PGM_RSRC2:SCRATCH_EN: 1
; COMPUTE_PGM_RSRC2:USER_SGPR: 2
; COMPUTE_PGM_RSRC2:TRAP_HANDLER: 0
; COMPUTE_PGM_RSRC2:TGID_X_EN: 1
; COMPUTE_PGM_RSRC2:TGID_Y_EN: 0
; COMPUTE_PGM_RSRC2:TGID_Z_EN: 0
; COMPUTE_PGM_RSRC2:TIDIG_COMP_CNT: 0
; COMPUTE_PGM_RSRC3_GFX90A:ACCUM_OFFSET: 31
; COMPUTE_PGM_RSRC3_GFX90A:TG_SPLIT: 0
	.section	.text._Z20warp_exchange_kernelILj32ELj32EN6common25BlockedToStripedShuffleOpEfEvPT2_S3_b,"axG",@progbits,_Z20warp_exchange_kernelILj32ELj32EN6common25BlockedToStripedShuffleOpEfEvPT2_S3_b,comdat
	.protected	_Z20warp_exchange_kernelILj32ELj32EN6common25BlockedToStripedShuffleOpEfEvPT2_S3_b ; -- Begin function _Z20warp_exchange_kernelILj32ELj32EN6common25BlockedToStripedShuffleOpEfEvPT2_S3_b
	.globl	_Z20warp_exchange_kernelILj32ELj32EN6common25BlockedToStripedShuffleOpEfEvPT2_S3_b
	.p2align	8
	.type	_Z20warp_exchange_kernelILj32ELj32EN6common25BlockedToStripedShuffleOpEfEvPT2_S3_b,@function
_Z20warp_exchange_kernelILj32ELj32EN6common25BlockedToStripedShuffleOpEfEvPT2_S3_b: ; @_Z20warp_exchange_kernelILj32ELj32EN6common25BlockedToStripedShuffleOpEfEvPT2_S3_b
; %bb.0:
	s_load_dwordx4 s[4:7], s[0:1], 0x0
	s_load_dword s2, s[0:1], 0x10
	v_lshlrev_b32_e32 v1, 7, v0
	v_lshlrev_b32_e32 v0, 5, v0
	s_waitcnt lgkmcnt(0)
	global_load_dwordx4 v[14:17], v1, s[4:5] offset:48
	global_load_dwordx4 v[22:25], v1, s[4:5] offset:32
	;; [unrolled: 1-line block ×3, first 2 shown]
	global_load_dwordx4 v[30:33], v1, s[4:5]
	global_load_dwordx4 v[2:5], v1, s[4:5] offset:112
	global_load_dwordx4 v[6:9], v1, s[4:5] offset:96
	global_load_dwordx4 v[10:13], v1, s[4:5] offset:80
	global_load_dwordx4 v[18:21], v1, s[4:5] offset:64
	v_mbcnt_lo_u32_b32 v1, -1, 0
	s_bitcmp0_b32 s2, 0
	v_mbcnt_hi_u32_b32 v1, -1, v1
	s_cbranch_scc0 .LBB36_2
; %bb.1:
	v_and_b32_e32 v34, 16, v1
	v_lshlrev_b32_e32 v35, 2, v34
	s_waitcnt vmcnt(4)
	scratch_store_dwordx4 off, v[30:33], off
	scratch_store_dwordx4 off, v[26:29], off offset:16
	scratch_store_dwordx4 off, v[22:25], off offset:32
	;; [unrolled: 1-line block ×3, first 2 shown]
	s_waitcnt vmcnt(4)
	scratch_store_dwordx4 off, v[18:21], off offset:64
	v_xor_b32_e32 v35, 64, v35
	scratch_load_dword v36, v35, off
	v_mov_b32_e32 v39, 0x44
	v_cmp_eq_u32_e64 s[0:1], 0, v34
	v_mov_b32_e32 v38, 0x48
	v_mov_b32_e32 v41, 0x4c
	v_cndmask_b32_e64 v34, 4, v39, s[0:1]
	v_mov_b32_e32 v40, 0x50
	scratch_store_dwordx4 off, v[10:13], off offset:80
	v_mov_b32_e32 v42, 0x54
	v_mov_b32_e32 v43, 0x58
	;; [unrolled: 1-line block ×4, first 2 shown]
	scratch_store_dwordx4 off, v[6:9], off offset:96
	v_mov_b32_e32 v46, 0x64
	v_mov_b32_e32 v47, 0x68
	v_cndmask_b32_e64 v49, 40, v47, s[0:1]
	scratch_store_dwordx4 off, v[2:5], off offset:112
	s_waitcnt vmcnt(3)
	ds_swizzle_b32 v36, v36 offset:swizzle(SWAP,16)
	s_waitcnt lgkmcnt(0)
	scratch_store_dword v35, v36, off
	scratch_load_dword v35, v34, off
	v_cndmask_b32_e64 v36, 8, v38, s[0:1]
	s_waitcnt vmcnt(0)
	ds_swizzle_b32 v35, v35 offset:swizzle(SWAP,16)
	s_waitcnt lgkmcnt(0)
	scratch_store_dword v34, v35, off
	scratch_load_dword v34, v36, off
	v_cndmask_b32_e64 v35, 12, v41, s[0:1]
	;; [unrolled: 6-line block ×8, first 2 shown]
	s_waitcnt vmcnt(0)
	ds_swizzle_b32 v34, v34 offset:swizzle(SWAP,16)
	s_waitcnt lgkmcnt(0)
	scratch_store_dword v36, v34, off
	scratch_load_dword v34, v35, off
	v_and_b32_e32 v36, 8, v1
	v_lshlrev_b32_e32 v37, 2, v36
	v_xor_b32_e32 v37, 32, v37
	scratch_load_dword v48, v37, off
	v_cmp_eq_u32_e32 vcc, 0, v36
	s_waitcnt vmcnt(1)
	ds_swizzle_b32 v34, v34 offset:swizzle(SWAP,16)
	v_cndmask_b32_e64 v36, 4, 36, vcc
	v_cndmask_b32_e64 v51, 8, 40, vcc
	;; [unrolled: 1-line block ×3, first 2 shown]
	s_waitcnt vmcnt(0)
	ds_swizzle_b32 v48, v48 offset:swizzle(SWAP,8)
	s_waitcnt lgkmcnt(1)
	scratch_store_dword v35, v34, off
	scratch_load_dword v35, v49, off
	v_cndmask_b32_e64 v55, 20, 52, vcc
	v_cndmask_b32_e32 v34, 64, v45, vcc
	s_waitcnt lgkmcnt(0)
	scratch_store_dword v37, v48, off
	scratch_load_dword v37, v36, off
	v_mov_b32_e32 v48, 0x6c
	v_cndmask_b32_e64 v50, 44, v48, s[0:1]
	s_waitcnt vmcnt(2)
	ds_swizzle_b32 v35, v35 offset:swizzle(SWAP,16)
	s_waitcnt vmcnt(0)
	ds_swizzle_b32 v37, v37 offset:swizzle(SWAP,8)
	s_waitcnt lgkmcnt(1)
	scratch_store_dword v49, v35, off
	scratch_load_dword v35, v50, off
	v_mov_b32_e32 v49, 0x70
	s_waitcnt lgkmcnt(0)
	scratch_store_dword v36, v37, off
	scratch_load_dword v36, v51, off
	v_cndmask_b32_e64 v37, 48, v49, s[0:1]
	s_waitcnt vmcnt(2)
	ds_swizzle_b32 v35, v35 offset:swizzle(SWAP,16)
	s_waitcnt lgkmcnt(0)
	scratch_store_dword v50, v35, off
	scratch_load_dword v35, v37, off
	s_waitcnt vmcnt(2)
	ds_swizzle_b32 v36, v36 offset:swizzle(SWAP,8)
	v_mov_b32_e32 v50, 0x74
	v_cndmask_b32_e64 v53, 52, v50, s[0:1]
	s_waitcnt lgkmcnt(0)
	scratch_store_dword v51, v36, off
	scratch_load_dword v36, v52, off
	v_mov_b32_e32 v51, 0x78
	v_cndmask_b32_e64 v54, 56, v51, s[0:1]
	s_waitcnt vmcnt(2)
	ds_swizzle_b32 v35, v35 offset:swizzle(SWAP,16)
	s_waitcnt lgkmcnt(0)
	scratch_store_dword v37, v35, off
	scratch_load_dword v35, v53, off
	s_waitcnt vmcnt(2)
	ds_swizzle_b32 v36, v36 offset:swizzle(SWAP,8)
	v_cndmask_b32_e64 v37, 16, 48, vcc
	s_waitcnt lgkmcnt(0)
	scratch_store_dword v52, v36, off
	scratch_load_dword v36, v37, off
	s_waitcnt vmcnt(2)
	ds_swizzle_b32 v35, v35 offset:swizzle(SWAP,16)
	s_waitcnt lgkmcnt(0)
	scratch_store_dword v53, v35, off
	scratch_load_dword v35, v54, off
	s_waitcnt vmcnt(2)
	ds_swizzle_b32 v36, v36 offset:swizzle(SWAP,8)
	v_and_b32_e32 v53, 4, v1
	v_lshlrev_b32_e32 v52, 2, v53
	v_xor_b32_e32 v56, 16, v52
	v_mov_b32_e32 v52, 0x7c
	s_waitcnt lgkmcnt(0)
	scratch_store_dword v37, v36, off
	scratch_load_dword v36, v55, off
	s_nop 0
	scratch_load_dword v37, v56, off
	v_cndmask_b32_e64 v57, 60, v52, s[0:1]
	v_cmp_eq_u32_e64 s[0:1], 0, v53
	s_waitcnt vmcnt(3)
	ds_swizzle_b32 v35, v35 offset:swizzle(SWAP,16)
	v_cndmask_b32_e64 v53, 4, 20, s[0:1]
	v_cndmask_b32_e64 v62, 64, v40, s[0:1]
	;; [unrolled: 1-line block ×3, first 2 shown]
	s_waitcnt lgkmcnt(0)
	scratch_store_dword v54, v35, off
	scratch_load_dword v35, v57, off
	s_waitcnt vmcnt(3)
	ds_swizzle_b32 v36, v36 offset:swizzle(SWAP,8)
	s_waitcnt vmcnt(2)
	ds_swizzle_b32 v37, v37 offset:swizzle(SWAP,4)
	v_cndmask_b32_e64 v54, 24, 56, vcc
	s_waitcnt lgkmcnt(1)
	scratch_store_dword v55, v36, off
	s_waitcnt lgkmcnt(0)
	scratch_store_dword v56, v37, off
	scratch_load_dword v36, v54, off
	s_nop 0
	scratch_load_dword v37, v53, off
	v_cndmask_b32_e64 v56, 8, 24, s[0:1]
	v_cndmask_b32_e64 v55, 28, 60, vcc
	s_waitcnt vmcnt(4)
	ds_swizzle_b32 v35, v35 offset:swizzle(SWAP,16)
	s_waitcnt lgkmcnt(0)
	scratch_store_dword v57, v35, off
	scratch_load_dword v35, v34, off
	s_waitcnt vmcnt(3)
	ds_swizzle_b32 v36, v36 offset:swizzle(SWAP,8)
	s_waitcnt vmcnt(2)
	ds_swizzle_b32 v37, v37 offset:swizzle(SWAP,4)
	s_waitcnt lgkmcnt(1)
	scratch_store_dword v54, v36, off
	s_waitcnt lgkmcnt(0)
	scratch_store_dword v53, v37, off
	scratch_load_dword v36, v56, off
	s_nop 0
	scratch_load_dword v37, v55, off
	v_cndmask_b32_e32 v53, v39, v46, vcc
	v_cndmask_b32_e64 v57, 12, 28, s[0:1]
	s_waitcnt vmcnt(4)
	ds_swizzle_b32 v35, v35 offset:swizzle(SWAP,8)
	s_waitcnt lgkmcnt(0)
	scratch_store_dword v34, v35, off
	scratch_load_dword v34, v53, off
	s_waitcnt vmcnt(2)
	ds_swizzle_b32 v37, v37 offset:swizzle(SWAP,8)
	ds_swizzle_b32 v36, v36 offset:swizzle(SWAP,4)
	v_and_b32_e32 v35, 2, v1
	v_lshlrev_b32_e32 v54, 2, v35
	v_xor_b32_e32 v54, 8, v54
	s_waitcnt lgkmcnt(1)
	scratch_store_dword v55, v37, off
	s_waitcnt lgkmcnt(0)
	scratch_store_dword v56, v36, off
	v_or_b32_e32 v54, 0, v54
	scratch_load_dword v36, v57, off
	scratch_load_dword v37, v54, off
	v_cndmask_b32_e32 v55, v38, v47, vcc
	v_cmp_eq_u32_e64 s[2:3], 0, v35
	s_waitcnt vmcnt(4)
	ds_swizzle_b32 v34, v34 offset:swizzle(SWAP,8)
	v_cndmask_b32_e64 v56, 4, 12, s[2:3]
	v_or_b32_e32 v56, 0, v56
	v_cndmask_b32_e64 v35, 16, 24, s[2:3]
	v_cndmask_b32_e64 v59, 20, 28, s[2:3]
	s_waitcnt lgkmcnt(0)
	scratch_store_dword v53, v34, off
	scratch_load_dword v34, v55, off
	v_cndmask_b32_e64 v53, 32, 48, s[0:1]
	scratch_load_dword v58, v53, off
	s_waitcnt vmcnt(4)
	ds_swizzle_b32 v36, v36 offset:swizzle(SWAP,4)
	s_waitcnt vmcnt(3)
	ds_swizzle_b32 v37, v37 offset:swizzle(SWAP,2)
	s_waitcnt lgkmcnt(1)
	scratch_store_dword v57, v36, off
	s_waitcnt lgkmcnt(0)
	scratch_store_dword v54, v37, off
	v_cndmask_b32_e32 v37, v41, v48, vcc
	scratch_load_dword v36, v56, off
	v_cndmask_b32_e64 v60, 32, 40, s[2:3]
	v_cndmask_b32_e64 v63, 36, 44, s[2:3]
	;; [unrolled: 1-line block ×3, first 2 shown]
	s_waitcnt vmcnt(4)
	ds_swizzle_b32 v34, v34 offset:swizzle(SWAP,8)
	s_waitcnt vmcnt(3)
	ds_swizzle_b32 v54, v58 offset:swizzle(SWAP,4)
	v_cndmask_b32_e64 v58, 36, 52, s[0:1]
	s_waitcnt lgkmcnt(1)
	scratch_store_dword v55, v34, off
	scratch_load_dword v34, v37, off
	v_and_b32_e32 v55, 1, v1
	v_lshlrev_b32_e32 v57, 2, v55
	s_waitcnt lgkmcnt(0)
	scratch_store_dword v53, v54, off
	s_waitcnt vmcnt(3)
	ds_swizzle_b32 v36, v36 offset:swizzle(SWAP,2)
	scratch_load_dword v53, v58, off
	scratch_load_dword v54, v35, off
	v_xor_b32_e32 v57, 4, v57
	v_or_b32_e32 v57, 0, v57
	v_cmp_eq_u32_e64 s[4:5], 0, v55
	s_waitcnt lgkmcnt(0)
	scratch_store_dword v56, v36, off
	v_cndmask_b32_e32 v56, v40, v49, vcc
	scratch_load_dword v36, v57, off
	v_cndmask_b32_e64 v55, 40, 56, s[0:1]
	v_cndmask_b32_e64 v61, 16, 20, s[4:5]
	;; [unrolled: 1-line block ×7, first 2 shown]
	s_waitcnt vmcnt(5)
	ds_swizzle_b32 v34, v34 offset:swizzle(SWAP,8)
	s_waitcnt lgkmcnt(0)
	scratch_store_dword v37, v34, off
	scratch_load_dword v34, v56, off
	s_waitcnt vmcnt(5)
	ds_swizzle_b32 v37, v53 offset:swizzle(SWAP,4)
	s_waitcnt vmcnt(4)
	ds_swizzle_b32 v53, v54 offset:swizzle(SWAP,2)
	s_waitcnt lgkmcnt(1)
	scratch_store_dword v58, v37, off
	s_waitcnt lgkmcnt(0)
	scratch_store_dword v35, v53, off
	scratch_load_dword v35, v55, off
	s_nop 0
	scratch_load_dword v37, v59, off
	v_cndmask_b32_e64 v54, 8, 12, s[4:5]
	v_or_b32_e32 v53, 0, v54
	v_cndmask_b32_e32 v58, v42, v50, vcc
	scratch_load_dword v54, v53, off
	s_waitcnt vmcnt(5)
	ds_swizzle_b32 v34, v34 offset:swizzle(SWAP,8)
	s_waitcnt lgkmcnt(0)
	scratch_store_dword v56, v34, off
	scratch_load_dword v34, v58, off
	s_waitcnt vmcnt(4)
	ds_swizzle_b32 v35, v35 offset:swizzle(SWAP,4)
	s_waitcnt vmcnt(3)
	ds_swizzle_b32 v37, v37 offset:swizzle(SWAP,2)
	v_cndmask_b32_e64 v56, 44, 60, s[0:1]
	s_waitcnt lgkmcnt(1)
	scratch_store_dword v55, v35, off
	s_waitcnt lgkmcnt(0)
	scratch_store_dword v59, v37, off
	scratch_load_dword v35, v56, off
	s_nop 0
	scratch_load_dword v37, v60, off
	scratch_load_dword v55, v61, off
	v_cndmask_b32_e32 v59, v43, v51, vcc
	s_waitcnt vmcnt(5)
	ds_swizzle_b32 v34, v34 offset:swizzle(SWAP,8)
	s_waitcnt vmcnt(2)
	ds_swizzle_b32 v35, v35 offset:swizzle(SWAP,4)
	s_waitcnt lgkmcnt(1)
	scratch_store_dword v58, v34, off
	scratch_load_dword v34, v59, off
	s_nop 0
	scratch_load_dword v58, v62, off
	s_waitcnt vmcnt(4)
	ds_swizzle_b32 v37, v37 offset:swizzle(SWAP,2)
	s_waitcnt lgkmcnt(1)
	scratch_store_dword v56, v35, off
	s_waitcnt lgkmcnt(0)
	scratch_store_dword v60, v37, off
	scratch_load_dword v35, v63, off
	scratch_load_dword v56, v64, off
	v_cndmask_b32_e64 v60, v39, v42, s[0:1]
	s_waitcnt vmcnt(5)
	ds_swizzle_b32 v34, v34 offset:swizzle(SWAP,8)
	s_waitcnt vmcnt(4)
	ds_swizzle_b32 v37, v58 offset:swizzle(SWAP,4)
	v_cndmask_b32_e32 v58, v44, v52, vcc
	s_waitcnt lgkmcnt(1)
	scratch_store_dword v59, v34, off
	s_waitcnt lgkmcnt(0)
	scratch_store_dword v62, v37, off
	scratch_load_dword v34, v58, off
	s_nop 0
	scratch_load_dword v37, v60, off
	scratch_load_dword v59, v65, off
	s_waitcnt vmcnt(6)
	ds_swizzle_b32 v35, v35 offset:swizzle(SWAP,2)
	v_cndmask_b32_e64 v62, v45, v49, s[0:1]
	s_waitcnt lgkmcnt(0)
	scratch_store_dword v63, v35, off
	scratch_load_dword v63, v67, off
	s_waitcnt vmcnt(4)
	ds_swizzle_b32 v34, v34 offset:swizzle(SWAP,8)
	s_waitcnt vmcnt(3)
	ds_swizzle_b32 v35, v37 offset:swizzle(SWAP,4)
	;; [unrolled: 2-line block ×3, first 2 shown]
	s_waitcnt lgkmcnt(2)
	scratch_store_dword v58, v34, off
	s_waitcnt lgkmcnt(1)
	scratch_store_dword v60, v35, off
	s_waitcnt lgkmcnt(0)
	scratch_store_dword v65, v37, off
	v_cndmask_b32_e64 v59, 52, 60, s[2:3]
	scratch_load_dword v34, v62, off
	scratch_load_dword v35, v59, off
	;; [unrolled: 1-line block ×4, first 2 shown]
	v_cndmask_b32_e64 v60, v46, v50, s[0:1]
	v_cndmask_b32_e64 v65, v41, v44, s[0:1]
	s_waitcnt vmcnt(3)
	ds_swizzle_b32 v34, v34 offset:swizzle(SWAP,4)
	s_waitcnt vmcnt(2)
	ds_swizzle_b32 v35, v35 offset:swizzle(SWAP,2)
	;; [unrolled: 2-line block ×3, first 2 shown]
	s_waitcnt lgkmcnt(2)
	scratch_store_dword v62, v34, off
	scratch_load_dword v34, v60, off
	v_cndmask_b32_e64 v62, 64, v38, s[2:3]
	s_waitcnt lgkmcnt(0)
	scratch_store_dword v66, v37, off
	scratch_store_dword v59, v35, off
	v_cndmask_b32_e64 v66, 48, 52, s[4:5]
	scratch_load_dword v35, v62, off
	scratch_load_dword v59, v66, off
	;; [unrolled: 1-line block ×3, first 2 shown]
	s_waitcnt vmcnt(5)
	ds_swizzle_b32 v34, v34 offset:swizzle(SWAP,4)
	s_waitcnt vmcnt(2)
	ds_swizzle_b32 v35, v35 offset:swizzle(SWAP,2)
	s_waitcnt lgkmcnt(1)
	scratch_store_dword v60, v34, off
	v_cndmask_b32_e64 v60, v47, v51, s[0:1]
	s_waitcnt vmcnt(1)
	ds_swizzle_b32 v34, v37 offset:swizzle(SWAP,4)
	scratch_load_dword v69, v60, off
	s_waitcnt lgkmcnt(1)
	scratch_store_dword v62, v35, off
	ds_swizzle_b32 v35, v54 offset:swizzle(SWAP,1)
	s_waitcnt lgkmcnt(1)
	scratch_store_dword v65, v34, off
	v_cndmask_b32_e64 v65, v39, v41, s[2:3]
	scratch_load_dword v62, v65, off
	ds_swizzle_b32 v34, v36 offset:swizzle(SWAP,1)
	s_waitcnt lgkmcnt(0)
	scratch_store_dword v57, v34, off
	scratch_store_dword v53, v35, off
	v_cndmask_b32_e64 v54, 56, 60, s[4:5]
	scratch_load_dword v53, v54, off
	scratch_load_dwordx4 v[34:37], off, off
	s_waitcnt vmcnt(7)
	ds_swizzle_b32 v57, v69 offset:swizzle(SWAP,4)
	v_cndmask_b32_e64 v69, 64, v39, s[4:5]
	v_cndmask_b32_e64 v39, v45, v47, s[2:3]
	;; [unrolled: 1-line block ×3, first 2 shown]
	s_waitcnt lgkmcnt(0)
	scratch_store_dword v60, v57, off
	v_cndmask_b32_e64 v57, v48, v52, s[0:1]
	s_waitcnt vmcnt(5)
	ds_swizzle_b32 v60, v62 offset:swizzle(SWAP,2)
	scratch_load_dword v62, v57, off
	s_waitcnt lgkmcnt(0)
	scratch_store_dword v65, v60, off
	v_cndmask_b32_e64 v60, v40, v43, s[2:3]
	scratch_load_dword v65, v60, off
	scratch_load_dword v70, v39, off
	;; [unrolled: 1-line block ×3, first 2 shown]
	s_waitcnt vmcnt(4)
	ds_swizzle_b32 v62, v62 offset:swizzle(SWAP,4)
	s_waitcnt lgkmcnt(0)
	scratch_store_dword v57, v62, off
	s_waitcnt vmcnt(3)
	ds_swizzle_b32 v57, v65 offset:swizzle(SWAP,2)
	v_cndmask_b32_e64 v65, v43, v44, s[4:5]
	s_waitcnt lgkmcnt(0)
	scratch_store_dword v60, v57, off
	v_cndmask_b32_e64 v57, v49, v51, s[2:3]
	v_cndmask_b32_e64 v60, v38, v41, s[4:5]
	scratch_load_dword v38, v57, off
	s_waitcnt vmcnt(4)
	ds_swizzle_b32 v41, v70 offset:swizzle(SWAP,2)
	s_waitcnt vmcnt(3)
	ds_swizzle_b32 v51, v71 offset:swizzle(SWAP,1)
	s_waitcnt lgkmcnt(1)
	scratch_store_dword v39, v41, off
	v_cndmask_b32_e64 v39, v46, v48, s[2:3]
	scratch_load_dword v62, v60, off
	scratch_load_dword v41, v39, off
	v_cndmask_b32_e64 v46, v45, v46, s[4:5]
	s_waitcnt vmcnt(3)
	ds_swizzle_b32 v38, v38 offset:swizzle(SWAP,2)
	s_waitcnt lgkmcnt(0)
	scratch_store_dword v57, v38, off
	v_cndmask_b32_e64 v38, v42, v44, s[2:3]
	v_cndmask_b32_e64 v57, v40, v42, s[4:5]
	scratch_load_dword v40, v38, off
	v_cndmask_b32_e64 v42, v50, v52, s[2:3]
	scratch_load_dword v43, v42, off
	s_waitcnt vmcnt(3)
	ds_swizzle_b32 v41, v41 offset:swizzle(SWAP,2)
	ds_swizzle_b32 v52, v62 offset:swizzle(SWAP,1)
	s_waitcnt vmcnt(1)
	ds_swizzle_b32 v40, v40 offset:swizzle(SWAP,2)
	s_waitcnt lgkmcnt(0)
	scratch_store_dword v38, v40, off
	scratch_store_dword v39, v41, off
	s_waitcnt vmcnt(2)
	ds_swizzle_b32 v38, v43 offset:swizzle(SWAP,2)
	scratch_load_dword v48, v57, off
	scratch_load_dword v70, v65, off
	;; [unrolled: 1-line block ×4, first 2 shown]
	ds_swizzle_b32 v39, v56 offset:swizzle(SWAP,1)
	ds_swizzle_b32 v40, v58 offset:swizzle(SWAP,1)
	;; [unrolled: 1-line block ×3, first 2 shown]
	s_waitcnt lgkmcnt(3)
	scratch_store_dword v42, v38, off
	scratch_load_dword v49, v74, off
	scratch_load_dword v50, v75, off
	ds_swizzle_b32 v38, v55 offset:swizzle(SWAP,1)
	s_waitcnt lgkmcnt(3)
	scratch_store_dword v64, v39, off
	ds_swizzle_b32 v39, v53 offset:swizzle(SWAP,1)
	s_waitcnt lgkmcnt(1)
	scratch_store_dword v61, v38, off
	;; [unrolled: 3-line block ×3, first 2 shown]
	scratch_store_dword v68, v40, off
	scratch_store_dword v66, v41, off
	;; [unrolled: 1-line block ×3, first 2 shown]
	scratch_load_dwordx4 v[38:41], off, off offset:32
	s_nop 0
	scratch_load_dwordx4 v[42:45], off, off offset:48
	s_waitcnt vmcnt(14)
	ds_swizzle_b32 v48, v48 offset:swizzle(SWAP,1)
	scratch_store_dword v60, v52, off
	scratch_store_dword v69, v51, off
	s_waitcnt vmcnt(13)
	ds_swizzle_b32 v52, v73 offset:swizzle(SWAP,1)
	ds_swizzle_b32 v51, v70 offset:swizzle(SWAP,1)
	;; [unrolled: 1-line block ×3, first 2 shown]
	s_waitcnt lgkmcnt(3)
	scratch_store_dword v57, v48, off
	s_waitcnt lgkmcnt(1)
	scratch_store_dword v65, v51, off
	;; [unrolled: 2-line block ×3, first 2 shown]
	s_waitcnt vmcnt(14)
	ds_swizzle_b32 v58, v49 offset:swizzle(SWAP,1)
	s_waitcnt vmcnt(13)
	ds_swizzle_b32 v59, v50 offset:swizzle(SWAP,1)
	scratch_store_dword v47, v52, off
	scratch_load_dwordx4 v[54:57], off, off offset:16
	s_nop 0
	scratch_load_dwordx4 v[46:49], off, off offset:64
	scratch_load_dwordx4 v[50:53], off, off offset:80
	s_waitcnt lgkmcnt(1)
	scratch_store_dword v74, v58, off
	s_waitcnt lgkmcnt(0)
	scratch_store_dword v75, v59, off
	scratch_load_dwordx4 v[58:61], off, off offset:96
	s_nop 0
	scratch_load_dwordx4 v[62:65], off, off offset:112
	s_cbranch_execz .LBB36_3
	s_branch .LBB36_4
.LBB36_2:
                                        ; implicit-def: $vgpr64_vgpr65
                                        ; implicit-def: $vgpr60_vgpr61
                                        ; implicit-def: $vgpr52_vgpr53
                                        ; implicit-def: $vgpr48_vgpr49
                                        ; implicit-def: $vgpr44_vgpr45
                                        ; implicit-def: $vgpr40_vgpr41
                                        ; implicit-def: $vgpr56_vgpr57
                                        ; implicit-def: $vgpr36_vgpr37
.LBB36_3:
	s_waitcnt vmcnt(4)
	scratch_store_dwordx4 off, v[30:33], off
	scratch_store_dwordx4 off, v[26:29], off offset:16
	scratch_store_dwordx4 off, v[22:25], off offset:32
	scratch_store_dwordx4 off, v[14:17], off offset:48
	s_waitcnt vmcnt(4)
	scratch_store_dwordx4 off, v[18:21], off offset:64
	scratch_store_dwordx4 off, v[10:13], off offset:80
	v_and_b32_e32 v14, 16, v1
	v_lshlrev_b32_e32 v15, 2, v14
	v_xor_b32_e32 v15, 64, v15
	scratch_load_dword v16, v15, off
	v_cmp_eq_u32_e64 s[0:1], 0, v14
	v_mov_b32_e32 v10, 0x50
	scratch_store_dwordx4 off, v[6:9], off offset:96
	v_cndmask_b32_e64 v12, 16, v10, s[0:1]
	scratch_store_dwordx4 off, v[2:5], off offset:112
	v_mov_b32_e32 v6, 0x60
	v_cndmask_b32_e64 v8, 32, v6, s[0:1]
	v_mov_b32_e32 v2, 0x70
	v_cndmask_b32_e64 v4, 48, v2, s[0:1]
	s_waitcnt vmcnt(2)
	ds_swizzle_b32 v17, v16 offset:swizzle(SWAP,16)
	v_mov_b32_e32 v16, 0x44
	v_cndmask_b32_e64 v18, 4, v16, s[0:1]
	s_waitcnt lgkmcnt(0)
	scratch_store_dword v15, v17, off
	scratch_load_dword v14, v18, off
	s_waitcnt vmcnt(0)
	ds_swizzle_b32 v15, v14 offset:swizzle(SWAP,16)
	v_mov_b32_e32 v14, 0x48
	v_cndmask_b32_e64 v17, 8, v14, s[0:1]
	s_waitcnt lgkmcnt(0)
	scratch_store_dword v18, v15, off
	scratch_load_dword v15, v17, off
	;; [unrolled: 7-line block ×3, first 2 shown]
	s_waitcnt vmcnt(0)
	ds_swizzle_b32 v17, v17 offset:swizzle(SWAP,16)
	s_waitcnt lgkmcnt(0)
	scratch_store_dword v19, v17, off
	scratch_load_dword v11, v12, off
	s_waitcnt vmcnt(0)
	ds_swizzle_b32 v13, v11 offset:swizzle(SWAP,16)
	v_mov_b32_e32 v11, 0x54
	v_cndmask_b32_e64 v17, 20, v11, s[0:1]
	s_waitcnt lgkmcnt(0)
	scratch_store_dword v12, v13, off
	scratch_load_dword v12, v17, off
	s_waitcnt vmcnt(0)
	ds_swizzle_b32 v13, v12 offset:swizzle(SWAP,16)
	v_mov_b32_e32 v12, 0x58
	v_cndmask_b32_e64 v18, 24, v12, s[0:1]
	;; [unrolled: 7-line block ×3, first 2 shown]
	s_waitcnt lgkmcnt(0)
	scratch_store_dword v18, v17, off
	scratch_load_dword v17, v19, off
	s_waitcnt vmcnt(0)
	ds_swizzle_b32 v17, v17 offset:swizzle(SWAP,16)
	s_waitcnt lgkmcnt(0)
	scratch_store_dword v19, v17, off
	scratch_load_dword v7, v8, off
	s_waitcnt vmcnt(0)
	ds_swizzle_b32 v9, v7 offset:swizzle(SWAP,16)
	v_mov_b32_e32 v7, 0x64
	v_cndmask_b32_e64 v17, 36, v7, s[0:1]
	s_waitcnt lgkmcnt(0)
	scratch_store_dword v8, v9, off
	scratch_load_dword v8, v17, off
	v_and_b32_e32 v9, 8, v1
	v_lshlrev_b32_e32 v18, 2, v9
	v_xor_b32_e32 v18, 32, v18
	scratch_load_dword v19, v18, off
	v_cmp_eq_u32_e32 vcc, 0, v9
	v_mov_b32_e32 v9, 0x6c
	s_waitcnt vmcnt(1)
	ds_swizzle_b32 v20, v8 offset:swizzle(SWAP,16)
	v_mov_b32_e32 v8, 0x68
	v_cndmask_b32_e64 v21, 40, v8, s[0:1]
	s_waitcnt vmcnt(0)
	ds_swizzle_b32 v19, v19 offset:swizzle(SWAP,8)
	s_waitcnt lgkmcnt(1)
	scratch_store_dword v17, v20, off
	scratch_load_dword v17, v21, off
	v_cndmask_b32_e64 v20, 4, 36, vcc
	s_waitcnt lgkmcnt(0)
	scratch_store_dword v18, v19, off
	scratch_load_dword v18, v20, off
	v_cndmask_b32_e64 v19, 44, v9, s[0:1]
	s_waitcnt vmcnt(2)
	ds_swizzle_b32 v17, v17 offset:swizzle(SWAP,16)
	s_waitcnt lgkmcnt(0)
	scratch_store_dword v21, v17, off
	scratch_load_dword v17, v19, off
	s_waitcnt vmcnt(2)
	ds_swizzle_b32 v18, v18 offset:swizzle(SWAP,8)
	v_cndmask_b32_e64 v21, 8, 40, vcc
	s_waitcnt lgkmcnt(0)
	scratch_store_dword v20, v18, off
	scratch_load_dword v18, v21, off
	s_waitcnt vmcnt(2)
	ds_swizzle_b32 v17, v17 offset:swizzle(SWAP,16)
	s_waitcnt lgkmcnt(0)
	scratch_store_dword v19, v17, off
	scratch_load_dword v3, v4, off
	s_waitcnt vmcnt(2)
	ds_swizzle_b32 v5, v18 offset:swizzle(SWAP,8)
	v_cndmask_b32_e64 v17, 12, 44, vcc
	s_waitcnt lgkmcnt(0)
	scratch_store_dword v21, v5, off
	scratch_load_dword v5, v17, off
	v_and_b32_e32 v21, 4, v1
	s_waitcnt vmcnt(2)
	ds_swizzle_b32 v18, v3 offset:swizzle(SWAP,16)
	v_mov_b32_e32 v3, 0x74
	v_cndmask_b32_e64 v19, 52, v3, s[0:1]
	s_waitcnt lgkmcnt(0)
	scratch_store_dword v4, v18, off
	scratch_load_dword v4, v19, off
	s_waitcnt vmcnt(2)
	ds_swizzle_b32 v5, v5 offset:swizzle(SWAP,8)
	v_cndmask_b32_e64 v18, 16, 48, vcc
	s_waitcnt lgkmcnt(0)
	scratch_store_dword v17, v5, off
	scratch_load_dword v5, v18, off
	s_waitcnt vmcnt(2)
	ds_swizzle_b32 v17, v4 offset:swizzle(SWAP,16)
	v_mov_b32_e32 v4, 0x78
	v_cndmask_b32_e64 v20, 56, v4, s[0:1]
	s_waitcnt lgkmcnt(0)
	scratch_store_dword v19, v17, off
	scratch_load_dword v17, v20, off
	s_waitcnt vmcnt(2)
	ds_swizzle_b32 v5, v5 offset:swizzle(SWAP,8)
	v_cndmask_b32_e64 v19, 20, 52, vcc
	s_waitcnt lgkmcnt(0)
	scratch_store_dword v18, v5, off
	v_lshlrev_b32_e32 v5, 2, v21
	v_xor_b32_e32 v22, 16, v5
	scratch_load_dword v23, v22, off
	scratch_load_dword v18, v19, off
	v_mov_b32_e32 v5, 0x7c
	v_cndmask_b32_e64 v24, 60, v5, s[0:1]
	v_cmp_eq_u32_e64 s[0:1], 0, v21
	s_waitcnt vmcnt(3)
	ds_swizzle_b32 v17, v17 offset:swizzle(SWAP,16)
	v_cndmask_b32_e64 v25, 12, 28, s[0:1]
	v_cndmask_b32_e64 v32, v6, v2, s[0:1]
	;; [unrolled: 1-line block ×3, first 2 shown]
	s_waitcnt lgkmcnt(0)
	scratch_store_dword v20, v17, off
	scratch_load_dword v17, v24, off
	v_cndmask_b32_e64 v20, 24, 56, vcc
	s_waitcnt vmcnt(3)
	ds_swizzle_b32 v23, v23 offset:swizzle(SWAP,4)
	s_waitcnt vmcnt(2)
	ds_swizzle_b32 v18, v18 offset:swizzle(SWAP,8)
	s_waitcnt lgkmcnt(1)
	scratch_store_dword v22, v23, off
	s_waitcnt lgkmcnt(0)
	scratch_store_dword v19, v18, off
	scratch_load_dword v18, v20, off
	v_cndmask_b32_e64 v19, 4, 20, s[0:1]
	v_cndmask_b32_e32 v22, 64, v6, vcc
	v_cndmask_b32_e64 v23, 28, 60, vcc
	s_waitcnt vmcnt(3)
	ds_swizzle_b32 v17, v17 offset:swizzle(SWAP,16)
	s_waitcnt lgkmcnt(0)
	scratch_store_dword v24, v17, off
	scratch_load_dword v17, v22, off
	s_nop 0
	scratch_load_dword v21, v19, off
	s_waitcnt vmcnt(3)
	ds_swizzle_b32 v18, v18 offset:swizzle(SWAP,8)
	s_waitcnt lgkmcnt(0)
	scratch_store_dword v20, v18, off
	scratch_load_dword v18, v23, off
	v_cndmask_b32_e64 v20, 8, 24, s[0:1]
	s_waitcnt vmcnt(3)
	ds_swizzle_b32 v17, v17 offset:swizzle(SWAP,8)
	s_waitcnt vmcnt(2)
	ds_swizzle_b32 v21, v21 offset:swizzle(SWAP,4)
	s_waitcnt lgkmcnt(1)
	scratch_store_dword v22, v17, off
	s_waitcnt lgkmcnt(0)
	scratch_store_dword v19, v21, off
	v_cndmask_b32_e32 v21, v16, v7, vcc
	scratch_load_dword v17, v21, off
	scratch_load_dword v19, v20, off
	s_waitcnt vmcnt(4)
	ds_swizzle_b32 v18, v18 offset:swizzle(SWAP,8)
	v_and_b32_e32 v22, 2, v1
	v_lshlrev_b32_e32 v24, 2, v22
	v_xor_b32_e32 v24, 8, v24
	v_or_b32_e32 v24, 0, v24
	v_cmp_eq_u32_e64 s[2:3], 0, v22
	v_cndmask_b32_e64 v22, 32, 48, s[0:1]
	v_and_b32_e32 v1, 1, v1
	v_cmp_eq_u32_e64 s[4:5], 0, v1
	v_cndmask_b32_e64 v26, 20, 28, s[2:3]
	v_cndmask_b32_e64 v27, 32, 40, s[2:3]
	v_cndmask_b32_e64 v28, 16, 20, s[4:5]
	v_cndmask_b32_e64 v30, 36, 44, s[2:3]
	v_cndmask_b32_e64 v31, 32, 36, s[4:5]
	v_cndmask_b32_e64 v33, 40, 44, s[4:5]
	v_cndmask_b32_e64 v38, 48, 52, s[4:5]
	v_cndmask_b32_e64 v39, v16, v15, s[2:3]
	v_cndmask_b32_e64 v40, 56, 60, s[4:5]
	s_waitcnt vmcnt(1)
	ds_swizzle_b32 v17, v17 offset:swizzle(SWAP,8)
	s_waitcnt vmcnt(0)
	ds_swizzle_b32 v19, v19 offset:swizzle(SWAP,4)
	s_waitcnt lgkmcnt(2)
	scratch_store_dword v23, v18, off
	s_waitcnt lgkmcnt(0)
	scratch_store_dword v20, v19, off
	scratch_load_dword v18, v25, off
	s_nop 0
	scratch_load_dword v19, v24, off
	v_cndmask_b32_e32 v20, v14, v8, vcc
	scratch_store_dword v21, v17, off
	scratch_load_dword v17, v20, off
	v_cndmask_b32_e64 v21, 4, 12, s[2:3]
	scratch_load_dword v23, v22, off
	v_or_b32_e32 v21, 0, v21
	s_waitcnt vmcnt(4)
	ds_swizzle_b32 v18, v18 offset:swizzle(SWAP,4)
	s_waitcnt vmcnt(3)
	ds_swizzle_b32 v19, v19 offset:swizzle(SWAP,2)
	s_waitcnt lgkmcnt(1)
	scratch_store_dword v25, v18, off
	s_waitcnt lgkmcnt(0)
	scratch_store_dword v24, v19, off
	s_waitcnt vmcnt(3)
	ds_swizzle_b32 v17, v17 offset:swizzle(SWAP,8)
	scratch_load_dword v18, v21, off
	v_cndmask_b32_e32 v19, v15, v9, vcc
	v_cndmask_b32_e64 v24, 36, 52, s[0:1]
	v_cndmask_b32_e64 v25, 16, 24, s[2:3]
	s_waitcnt lgkmcnt(0)
	scratch_store_dword v20, v17, off
	s_waitcnt vmcnt(4)
	ds_swizzle_b32 v20, v23 offset:swizzle(SWAP,4)
	v_lshlrev_b32_e32 v23, 2, v1
	v_cndmask_b32_e64 v1, 8, 12, s[4:5]
	v_or_b32_e32 v1, 0, v1
	s_waitcnt lgkmcnt(0)
	scratch_store_dword v22, v20, off
	scratch_load_dword v20, v24, off
	s_nop 0
	scratch_load_dword v17, v19, off
	v_xor_b32_e32 v22, 4, v23
	v_or_b32_e32 v22, 0, v22
	v_cndmask_b32_e32 v23, v10, v2, vcc
	s_waitcnt vmcnt(4)
	ds_swizzle_b32 v18, v18 offset:swizzle(SWAP,2)
	s_waitcnt lgkmcnt(0)
	scratch_store_dword v21, v18, off
	scratch_load_dword v18, v25, off
	s_nop 0
	scratch_load_dword v21, v22, off
	s_waitcnt vmcnt(3)
	ds_swizzle_b32 v17, v17 offset:swizzle(SWAP,8)
	s_waitcnt lgkmcnt(0)
	scratch_store_dword v19, v17, off
	scratch_load_dword v17, v23, off
	ds_swizzle_b32 v19, v20 offset:swizzle(SWAP,4)
	v_cndmask_b32_e64 v20, 40, 56, s[0:1]
	s_waitcnt lgkmcnt(0)
	scratch_store_dword v24, v19, off
	scratch_load_dword v19, v20, off
	s_waitcnt vmcnt(5)
	ds_swizzle_b32 v18, v18 offset:swizzle(SWAP,2)
	s_waitcnt vmcnt(4)
	ds_swizzle_b32 v21, v21 offset:swizzle(SWAP,1)
	s_waitcnt lgkmcnt(1)
	scratch_store_dword v25, v18, off
	scratch_load_dword v18, v26, off
	s_nop 0
	scratch_load_dword v24, v1, off
	v_cndmask_b32_e32 v25, v11, v3, vcc
	s_waitcnt vmcnt(5)
	ds_swizzle_b32 v17, v17 offset:swizzle(SWAP,8)
	s_waitcnt lgkmcnt(0)
	scratch_store_dword v23, v17, off
	scratch_load_dword v17, v25, off
	s_waitcnt vmcnt(5)
	ds_swizzle_b32 v19, v19 offset:swizzle(SWAP,4)
	v_cndmask_b32_e64 v23, 44, 60, s[0:1]
	s_waitcnt lgkmcnt(0)
	scratch_store_dword v20, v19, off
	scratch_load_dword v19, v23, off
	s_nop 0
	scratch_load_dword v20, v27, off
	s_waitcnt vmcnt(6)
	ds_swizzle_b32 v18, v18 offset:swizzle(SWAP,2)
	s_waitcnt vmcnt(5)
	ds_swizzle_b32 v24, v24 offset:swizzle(SWAP,1)
	s_waitcnt lgkmcnt(1)
	scratch_store_dword v26, v18, off
	v_cndmask_b32_e32 v26, v12, v4, vcc
	scratch_load_dword v18, v28, off
	s_waitcnt vmcnt(5)
	ds_swizzle_b32 v17, v17 offset:swizzle(SWAP,8)
	s_waitcnt lgkmcnt(0)
	scratch_store_dword v25, v17, off
	scratch_load_dword v17, v26, off
	v_cndmask_b32_e64 v25, 64, v10, s[0:1]
	scratch_load_dword v29, v25, off
	s_waitcnt vmcnt(6)
	ds_swizzle_b32 v19, v19 offset:swizzle(SWAP,4)
	s_waitcnt vmcnt(5)
	ds_swizzle_b32 v20, v20 offset:swizzle(SWAP,2)
	s_waitcnt lgkmcnt(1)
	scratch_store_dword v23, v19, off
	s_waitcnt lgkmcnt(0)
	scratch_store_dword v27, v20, off
	scratch_load_dword v19, v30, off
	v_cndmask_b32_e64 v20, 24, 28, s[4:5]
	v_cndmask_b32_e32 v27, v13, v5, vcc
	scratch_load_dword v23, v20, off
	s_waitcnt vmcnt(5)
	ds_swizzle_b32 v17, v17 offset:swizzle(SWAP,8)
	s_waitcnt lgkmcnt(0)
	scratch_store_dword v26, v17, off
	scratch_load_dword v17, v27, off
	s_waitcnt vmcnt(6)
	ds_swizzle_b32 v26, v29 offset:swizzle(SWAP,4)
	v_cndmask_b32_e64 v29, v16, v11, s[0:1]
	v_cndmask_b32_e64 v16, 64, v16, s[4:5]
	s_waitcnt lgkmcnt(0)
	scratch_store_dword v25, v26, off
	scratch_load_dword v25, v29, off
	s_waitcnt vmcnt(5)
	ds_swizzle_b32 v19, v19 offset:swizzle(SWAP,2)
	v_cndmask_b32_e64 v26, 48, 56, s[2:3]
	s_waitcnt lgkmcnt(0)
	scratch_store_dword v30, v19, off
	scratch_load_dword v19, v26, off
	s_nop 0
	scratch_load_dword v30, v31, off
	s_waitcnt vmcnt(5)
	ds_swizzle_b32 v17, v17 offset:swizzle(SWAP,8)
	s_waitcnt lgkmcnt(0)
	scratch_store_dword v27, v17, off
	scratch_load_dword v17, v32, off
	s_waitcnt vmcnt(5)
	ds_swizzle_b32 v25, v25 offset:swizzle(SWAP,4)
	v_cndmask_b32_e64 v27, v14, v12, s[0:1]
	s_waitcnt lgkmcnt(0)
	scratch_store_dword v29, v25, off
	scratch_load_dword v25, v27, off
	s_waitcnt vmcnt(5)
	ds_swizzle_b32 v19, v19 offset:swizzle(SWAP,2)
	v_cndmask_b32_e64 v29, 52, 60, s[2:3]
	s_waitcnt lgkmcnt(0)
	scratch_store_dword v26, v19, off
	scratch_load_dword v19, v29, off
	s_nop 0
	scratch_load_dword v26, v33, off
	s_waitcnt vmcnt(5)
	ds_swizzle_b32 v17, v17 offset:swizzle(SWAP,4)
	s_waitcnt lgkmcnt(0)
	scratch_store_dword v32, v17, off
	scratch_load_dword v17, v34, off
	s_waitcnt vmcnt(5)
	ds_swizzle_b32 v25, v25 offset:swizzle(SWAP,4)
	v_cndmask_b32_e64 v32, v15, v13, s[0:1]
	s_waitcnt lgkmcnt(0)
	scratch_store_dword v27, v25, off
	s_waitcnt vmcnt(4)
	ds_swizzle_b32 v19, v19 offset:swizzle(SWAP,2)
	v_cndmask_b32_e64 v27, 64, v14, s[2:3]
	scratch_load_dword v35, v27, off
	v_cndmask_b32_e64 v14, v14, v15, s[4:5]
	s_waitcnt lgkmcnt(0)
	scratch_store_dword v29, v19, off
	scratch_load_dword v19, v38, off
	s_nop 0
	scratch_load_dword v25, v32, off
	v_cndmask_b32_e64 v29, v8, v4, s[0:1]
	s_waitcnt vmcnt(5)
	ds_swizzle_b32 v17, v17 offset:swizzle(SWAP,4)
	s_waitcnt lgkmcnt(0)
	scratch_store_dword v34, v17, off
	scratch_load_dword v17, v29, off
	s_waitcnt vmcnt(5)
	ds_swizzle_b32 v34, v35 offset:swizzle(SWAP,2)
	s_waitcnt vmcnt(3)
	ds_swizzle_b32 v19, v19 offset:swizzle(SWAP,1)
	;; [unrolled: 2-line block ×3, first 2 shown]
	scratch_store_dword v22, v21, off
	scratch_store_dword v1, v24, off
	s_waitcnt lgkmcnt(0)
	scratch_store_dword v32, v25, off
	scratch_store_dword v27, v34, off
	scratch_load_dword v1, v39, off
	scratch_load_dword v21, v40, off
	s_nop 0
	scratch_load_dwordx4 v[34:37], off, off
	v_cndmask_b32_e64 v22, v9, v5, s[0:1]
	v_cndmask_b32_e64 v24, v10, v12, s[2:3]
	;; [unrolled: 1-line block ×8, first 2 shown]
	s_waitcnt vmcnt(7)
	ds_swizzle_b32 v17, v17 offset:swizzle(SWAP,4)
	s_waitcnt lgkmcnt(0)
	scratch_store_dword v29, v17, off
	scratch_load_dword v17, v22, off
	s_nop 0
	scratch_load_dword v27, v24, off
	scratch_load_dword v29, v25, off
	s_waitcnt vmcnt(6)
	ds_swizzle_b32 v1, v1 offset:swizzle(SWAP,2)
	s_waitcnt lgkmcnt(0)
	scratch_store_dword v39, v1, off
	scratch_load_dword v1, v16, off
	v_cndmask_b32_e64 v39, v7, v9, s[2:3]
	v_cndmask_b32_e64 v7, v8, v9, s[4:5]
	s_waitcnt vmcnt(4)
	ds_swizzle_b32 v17, v17 offset:swizzle(SWAP,4)
	s_waitcnt lgkmcnt(0)
	scratch_store_dword v22, v17, off
	scratch_load_dword v17, v32, off
	s_waitcnt vmcnt(5)
	ds_swizzle_b32 v22, v27 offset:swizzle(SWAP,2)
	s_waitcnt vmcnt(4)
	ds_swizzle_b32 v27, v29 offset:swizzle(SWAP,2)
	v_cndmask_b32_e64 v29, v11, v13, s[2:3]
	s_waitcnt lgkmcnt(1)
	scratch_store_dword v24, v22, off
	s_waitcnt lgkmcnt(0)
	scratch_store_dword v25, v27, off
	scratch_load_dword v22, v29, off
	scratch_load_dword v24, v39, off
	v_cndmask_b32_e64 v25, v3, v5, s[2:3]
	scratch_load_dword v15, v14, off
	v_cndmask_b32_e64 v3, v4, v5, s[4:5]
	s_waitcnt vmcnt(7)
	ds_swizzle_b32 v1, v1 offset:swizzle(SWAP,1)
	s_waitcnt vmcnt(5)
	ds_swizzle_b32 v17, v17 offset:swizzle(SWAP,2)
	s_waitcnt lgkmcnt(0)
	scratch_store_dword v32, v17, off
	scratch_load_dword v17, v25, off
	s_waitcnt vmcnt(4)
	ds_swizzle_b32 v11, v22 offset:swizzle(SWAP,2)
	s_waitcnt vmcnt(3)
	ds_swizzle_b32 v22, v24 offset:swizzle(SWAP,2)
	s_waitcnt lgkmcnt(1)
	scratch_store_dword v29, v11, off
	s_waitcnt lgkmcnt(0)
	scratch_store_dword v39, v22, off
	scratch_load_dword v8, v10, off
	scratch_load_dword v9, v12, off
	;; [unrolled: 1-line block ×4, first 2 shown]
	ds_swizzle_b32 v22, v26 offset:swizzle(SWAP,1)
	s_waitcnt vmcnt(8)
	ds_swizzle_b32 v15, v15 offset:swizzle(SWAP,1)
	s_waitcnt vmcnt(6)
	ds_swizzle_b32 v17, v17 offset:swizzle(SWAP,2)
	s_waitcnt lgkmcnt(0)
	scratch_store_dword v25, v17, off
	scratch_load_dword v4, v2, off
	scratch_load_dword v5, v3, off
	ds_swizzle_b32 v17, v18 offset:swizzle(SWAP,1)
	ds_swizzle_b32 v18, v23 offset:swizzle(SWAP,1)
	s_waitcnt lgkmcnt(1)
	scratch_store_dword v28, v17, off
	ds_swizzle_b32 v17, v30 offset:swizzle(SWAP,1)
	s_waitcnt lgkmcnt(1)
	scratch_store_dword v20, v18, off
	;; [unrolled: 3-line block ×3, first 2 shown]
	scratch_store_dword v33, v22, off
	scratch_store_dword v38, v19, off
	s_waitcnt lgkmcnt(0)
	scratch_store_dword v40, v18, off
	scratch_load_dwordx4 v[38:41], off, off offset:32
	s_nop 0
	scratch_load_dwordx4 v[42:45], off, off offset:48
	s_nop 0
	scratch_store_dword v16, v1, off
	s_waitcnt vmcnt(15)
	ds_swizzle_b32 v1, v8 offset:swizzle(SWAP,1)
	s_waitcnt vmcnt(14)
	ds_swizzle_b32 v8, v9 offset:swizzle(SWAP,1)
	s_waitcnt vmcnt(13)
	ds_swizzle_b32 v9, v11 offset:swizzle(SWAP,1)
	s_waitcnt vmcnt(12)
	ds_swizzle_b32 v11, v13 offset:swizzle(SWAP,1)
	scratch_store_dword v14, v15, off
	s_waitcnt lgkmcnt(3)
	scratch_store_dword v10, v1, off
	s_waitcnt lgkmcnt(2)
	;; [unrolled: 2-line block ×3, first 2 shown]
	scratch_store_dword v6, v9, off
	scratch_load_dwordx4 v[54:57], off, off offset:16
	s_waitcnt vmcnt(15)
	ds_swizzle_b32 v1, v4 offset:swizzle(SWAP,1)
	s_waitcnt vmcnt(14)
	ds_swizzle_b32 v4, v5 offset:swizzle(SWAP,1)
	s_waitcnt lgkmcnt(2)
	scratch_store_dword v7, v11, off
	scratch_load_dwordx4 v[46:49], off, off offset:64
	scratch_load_dwordx4 v[50:53], off, off offset:80
	s_waitcnt lgkmcnt(1)
	scratch_store_dword v2, v1, off
	s_waitcnt lgkmcnt(0)
	scratch_store_dword v3, v4, off
	scratch_load_dwordx4 v[58:61], off, off offset:96
	scratch_load_dwordx4 v[62:65], off, off offset:112
.LBB36_4:
	v_lshlrev_b32_e32 v0, 2, v0
	global_store_dwordx4 v0, v[34:37], s[6:7]
	s_waitcnt vmcnt(7)
	global_store_dwordx4 v0, v[54:57], s[6:7] offset:16
	global_store_dwordx4 v0, v[38:41], s[6:7] offset:32
	;; [unrolled: 1-line block ×3, first 2 shown]
	s_waitcnt vmcnt(9)
	global_store_dwordx4 v0, v[46:49], s[6:7] offset:64
	s_waitcnt vmcnt(9)
	global_store_dwordx4 v0, v[50:53], s[6:7] offset:80
	;; [unrolled: 2-line block ×4, first 2 shown]
	s_endpgm
	.section	.rodata,"a",@progbits
	.p2align	6, 0x0
	.amdhsa_kernel _Z20warp_exchange_kernelILj32ELj32EN6common25BlockedToStripedShuffleOpEfEvPT2_S3_b
		.amdhsa_group_segment_fixed_size 0
		.amdhsa_private_segment_fixed_size 144
		.amdhsa_kernarg_size 20
		.amdhsa_user_sgpr_count 2
		.amdhsa_user_sgpr_dispatch_ptr 0
		.amdhsa_user_sgpr_queue_ptr 0
		.amdhsa_user_sgpr_kernarg_segment_ptr 1
		.amdhsa_user_sgpr_dispatch_id 0
		.amdhsa_user_sgpr_kernarg_preload_length 0
		.amdhsa_user_sgpr_kernarg_preload_offset 0
		.amdhsa_user_sgpr_private_segment_size 0
		.amdhsa_uses_dynamic_stack 0
		.amdhsa_enable_private_segment 1
		.amdhsa_system_sgpr_workgroup_id_x 1
		.amdhsa_system_sgpr_workgroup_id_y 0
		.amdhsa_system_sgpr_workgroup_id_z 0
		.amdhsa_system_sgpr_workgroup_info 0
		.amdhsa_system_vgpr_workitem_id 0
		.amdhsa_next_free_vgpr 76
		.amdhsa_next_free_sgpr 8
		.amdhsa_accum_offset 76
		.amdhsa_reserve_vcc 1
		.amdhsa_float_round_mode_32 0
		.amdhsa_float_round_mode_16_64 0
		.amdhsa_float_denorm_mode_32 3
		.amdhsa_float_denorm_mode_16_64 3
		.amdhsa_dx10_clamp 1
		.amdhsa_ieee_mode 1
		.amdhsa_fp16_overflow 0
		.amdhsa_tg_split 0
		.amdhsa_exception_fp_ieee_invalid_op 0
		.amdhsa_exception_fp_denorm_src 0
		.amdhsa_exception_fp_ieee_div_zero 0
		.amdhsa_exception_fp_ieee_overflow 0
		.amdhsa_exception_fp_ieee_underflow 0
		.amdhsa_exception_fp_ieee_inexact 0
		.amdhsa_exception_int_div_zero 0
	.end_amdhsa_kernel
	.section	.text._Z20warp_exchange_kernelILj32ELj32EN6common25BlockedToStripedShuffleOpEfEvPT2_S3_b,"axG",@progbits,_Z20warp_exchange_kernelILj32ELj32EN6common25BlockedToStripedShuffleOpEfEvPT2_S3_b,comdat
.Lfunc_end36:
	.size	_Z20warp_exchange_kernelILj32ELj32EN6common25BlockedToStripedShuffleOpEfEvPT2_S3_b, .Lfunc_end36-_Z20warp_exchange_kernelILj32ELj32EN6common25BlockedToStripedShuffleOpEfEvPT2_S3_b
                                        ; -- End function
	.section	.AMDGPU.csdata,"",@progbits
; Kernel info:
; codeLenInByte = 7160
; NumSgprs: 14
; NumVgprs: 76
; NumAgprs: 0
; TotalNumVgprs: 76
; ScratchSize: 144
; MemoryBound: 1
; FloatMode: 240
; IeeeMode: 1
; LDSByteSize: 0 bytes/workgroup (compile time only)
; SGPRBlocks: 1
; VGPRBlocks: 9
; NumSGPRsForWavesPerEU: 14
; NumVGPRsForWavesPerEU: 76
; AccumOffset: 76
; Occupancy: 6
; WaveLimiterHint : 0
; COMPUTE_PGM_RSRC2:SCRATCH_EN: 1
; COMPUTE_PGM_RSRC2:USER_SGPR: 2
; COMPUTE_PGM_RSRC2:TRAP_HANDLER: 0
; COMPUTE_PGM_RSRC2:TGID_X_EN: 1
; COMPUTE_PGM_RSRC2:TGID_Y_EN: 0
; COMPUTE_PGM_RSRC2:TGID_Z_EN: 0
; COMPUTE_PGM_RSRC2:TIDIG_COMP_CNT: 0
; COMPUTE_PGM_RSRC3_GFX90A:ACCUM_OFFSET: 18
; COMPUTE_PGM_RSRC3_GFX90A:TG_SPLIT: 0
	.section	.text._Z20warp_exchange_kernelILj8ELj8EN6common25BlockedToStripedShuffleOpElEvPT2_S3_b,"axG",@progbits,_Z20warp_exchange_kernelILj8ELj8EN6common25BlockedToStripedShuffleOpElEvPT2_S3_b,comdat
	.protected	_Z20warp_exchange_kernelILj8ELj8EN6common25BlockedToStripedShuffleOpElEvPT2_S3_b ; -- Begin function _Z20warp_exchange_kernelILj8ELj8EN6common25BlockedToStripedShuffleOpElEvPT2_S3_b
	.globl	_Z20warp_exchange_kernelILj8ELj8EN6common25BlockedToStripedShuffleOpElEvPT2_S3_b
	.p2align	8
	.type	_Z20warp_exchange_kernelILj8ELj8EN6common25BlockedToStripedShuffleOpElEvPT2_S3_b,@function
_Z20warp_exchange_kernelILj8ELj8EN6common25BlockedToStripedShuffleOpElEvPT2_S3_b: ; @_Z20warp_exchange_kernelILj8ELj8EN6common25BlockedToStripedShuffleOpElEvPT2_S3_b
; %bb.0:
	s_load_dwordx4 s[4:7], s[0:1], 0x0
	s_load_dword s2, s[0:1], 0x10
	v_lshlrev_b32_e32 v1, 6, v0
	v_lshlrev_b32_e32 v0, 3, v0
	s_waitcnt lgkmcnt(0)
	global_load_dwordx4 v[2:5], v1, s[4:5] offset:48
	global_load_dwordx4 v[6:9], v1, s[4:5] offset:32
	;; [unrolled: 1-line block ×3, first 2 shown]
	global_load_dwordx4 v[14:17], v1, s[4:5]
	v_mbcnt_lo_u32_b32 v1, -1, 0
	v_mbcnt_hi_u32_b32 v1, -1, v1
	v_and_b32_e32 v18, 4, v1
	v_lshlrev_b32_e32 v19, 3, v18
	v_cmp_eq_u32_e32 vcc, 0, v18
	s_bitcmp0_b32 s2, 0
	v_xor_b32_e32 v38, 32, v19
	v_cndmask_b32_e64 v37, 8, 40, vcc
	v_cndmask_b32_e64 v36, 16, 48, vcc
	;; [unrolled: 1-line block ×3, first 2 shown]
	v_and_b32_e32 v35, 2, v1
	v_and_b32_e32 v1, 1, v1
	s_cbranch_scc0 .LBB37_2
; %bb.1:
	s_waitcnt vmcnt(0)
	scratch_store_dwordx4 off, v[14:17], off
	scratch_store_dwordx4 off, v[10:13], off offset:16
	scratch_store_dwordx4 off, v[6:9], off offset:32
	scratch_load_dwordx2 v[18:19], v38, off
	v_lshlrev_b32_e32 v20, 3, v35
	v_xor_b32_e32 v22, 16, v20
	v_cmp_eq_u32_e32 vcc, 0, v35
	s_waitcnt vmcnt(0)
	ds_swizzle_b32 v18, v18 offset:swizzle(SWAP,4)
	ds_swizzle_b32 v19, v19 offset:swizzle(SWAP,4)
	v_cndmask_b32_e64 v24, 32, 48, vcc
	v_cndmask_b32_e64 v23, 8, 24, vcc
	v_cndmask_b32_e64 v25, 40, 56, vcc
	v_cmp_eq_u32_e32 vcc, 0, v1
	s_waitcnt lgkmcnt(0)
	scratch_store_dwordx2 v38, v[18:19], off
	scratch_load_dwordx2 v[18:19], v37, off
	v_cndmask_b32_e64 v30, 16, 24, vcc
	v_cndmask_b32_e64 v31, 32, 40, vcc
	;; [unrolled: 1-line block ×3, first 2 shown]
	s_waitcnt vmcnt(0)
	ds_swizzle_b32 v18, v18 offset:swizzle(SWAP,4)
	ds_swizzle_b32 v19, v19 offset:swizzle(SWAP,4)
	scratch_store_dwordx4 off, v[2:5], off offset:48
	s_waitcnt lgkmcnt(0)
	scratch_store_dwordx2 v37, v[18:19], off
	scratch_load_dwordx2 v[18:19], v36, off
	s_waitcnt vmcnt(0)
	ds_swizzle_b32 v18, v18 offset:swizzle(SWAP,4)
	ds_swizzle_b32 v19, v19 offset:swizzle(SWAP,4)
	s_waitcnt lgkmcnt(0)
	scratch_store_dwordx2 v36, v[18:19], off
	scratch_load_dwordx2 v[18:19], v34, off
	s_nop 0
	scratch_load_dwordx2 v[20:21], v22, off
	s_waitcnt vmcnt(1)
	ds_swizzle_b32 v18, v18 offset:swizzle(SWAP,4)
	ds_swizzle_b32 v19, v19 offset:swizzle(SWAP,4)
	s_waitcnt lgkmcnt(0)
	scratch_store_dwordx2 v34, v[18:19], off
	scratch_load_dwordx2 v[18:19], v24, off
	s_waitcnt vmcnt(2)
	ds_swizzle_b32 v20, v20 offset:swizzle(SWAP,2)
	ds_swizzle_b32 v21, v21 offset:swizzle(SWAP,2)
	s_waitcnt lgkmcnt(0)
	scratch_store_dwordx2 v22, v[20:21], off
	scratch_load_dwordx2 v[20:21], v23, off
	v_lshlrev_b32_e32 v22, 3, v1
	v_xor_b32_e32 v22, 8, v22
	v_or_b32_e32 v26, 0, v22
	s_waitcnt vmcnt(2)
	ds_swizzle_b32 v18, v18 offset:swizzle(SWAP,2)
	ds_swizzle_b32 v19, v19 offset:swizzle(SWAP,2)
	s_waitcnt lgkmcnt(0)
	scratch_store_dwordx2 v24, v[18:19], off
	scratch_load_dwordx2 v[18:19], v25, off
	s_waitcnt vmcnt(2)
	ds_swizzle_b32 v20, v20 offset:swizzle(SWAP,2)
	ds_swizzle_b32 v21, v21 offset:swizzle(SWAP,2)
	s_waitcnt lgkmcnt(0)
	scratch_store_dwordx2 v23, v[20:21], off
	scratch_load_dwordx2 v[20:21], v26, off
	s_nop 0
	scratch_load_dwordx2 v[22:23], v30, off
	s_waitcnt vmcnt(3)
	ds_swizzle_b32 v18, v18 offset:swizzle(SWAP,2)
	ds_swizzle_b32 v19, v19 offset:swizzle(SWAP,2)
	s_waitcnt lgkmcnt(0)
	scratch_store_dwordx2 v25, v[18:19], off
	scratch_load_dwordx2 v[18:19], v31, off
	s_nop 0
	scratch_load_dwordx2 v[24:25], v32, off
	s_waitcnt vmcnt(4)
	ds_swizzle_b32 v20, v20 offset:swizzle(SWAP,1)
	ds_swizzle_b32 v21, v21 offset:swizzle(SWAP,1)
	s_waitcnt vmcnt(3)
	ds_swizzle_b32 v22, v22 offset:swizzle(SWAP,1)
	ds_swizzle_b32 v23, v23 offset:swizzle(SWAP,1)
	s_waitcnt lgkmcnt(2)
	scratch_store_dwordx2 v26, v[20:21], off
	s_waitcnt lgkmcnt(0)
	scratch_store_dwordx2 v30, v[22:23], off
	s_waitcnt vmcnt(3)
	ds_swizzle_b32 v26, v18 offset:swizzle(SWAP,1)
	ds_swizzle_b32 v27, v19 offset:swizzle(SWAP,1)
	s_waitcnt vmcnt(2)
	ds_swizzle_b32 v28, v24 offset:swizzle(SWAP,1)
	ds_swizzle_b32 v29, v25 offset:swizzle(SWAP,1)
	scratch_load_dwordx4 v[18:21], off, off
	scratch_load_dwordx4 v[22:25], off, off offset:16
	s_waitcnt lgkmcnt(2)
	scratch_store_dwordx2 v31, v[26:27], off
	s_waitcnt lgkmcnt(0)
	scratch_store_dwordx2 v32, v[28:29], off
	scratch_load_dwordx4 v[26:29], off, off offset:32
	s_nop 0
	scratch_load_dwordx4 v[30:33], off, off offset:48
	s_cbranch_execz .LBB37_3
	s_branch .LBB37_4
.LBB37_2:
                                        ; implicit-def: $vgpr32_vgpr33
                                        ; implicit-def: $vgpr28_vgpr29
                                        ; implicit-def: $vgpr24_vgpr25
                                        ; implicit-def: $vgpr20_vgpr21
.LBB37_3:
	s_waitcnt vmcnt(0)
	scratch_store_dwordx4 off, v[14:17], off
	scratch_store_dwordx4 off, v[10:13], off offset:16
	scratch_store_dwordx4 off, v[6:9], off offset:32
	scratch_load_dwordx2 v[6:7], v38, off
	v_cmp_eq_u32_e32 vcc, 0, v35
	s_waitcnt vmcnt(0)
	ds_swizzle_b32 v6, v6 offset:swizzle(SWAP,4)
	ds_swizzle_b32 v7, v7 offset:swizzle(SWAP,4)
	v_cndmask_b32_e64 v8, 32, 48, vcc
	v_cndmask_b32_e64 v9, 40, 56, vcc
	s_waitcnt lgkmcnt(0)
	scratch_store_dwordx2 v38, v[6:7], off
	scratch_load_dwordx2 v[6:7], v37, off
	s_waitcnt vmcnt(0)
	ds_swizzle_b32 v6, v6 offset:swizzle(SWAP,4)
	ds_swizzle_b32 v7, v7 offset:swizzle(SWAP,4)
	scratch_store_dwordx4 off, v[2:5], off offset:48
	s_waitcnt lgkmcnt(0)
	scratch_store_dwordx2 v37, v[6:7], off
	scratch_load_dwordx2 v[2:3], v36, off
	v_lshlrev_b32_e32 v4, 3, v35
	v_xor_b32_e32 v6, 16, v4
	v_cndmask_b32_e64 v7, 8, 24, vcc
	v_cmp_eq_u32_e32 vcc, 0, v1
	s_waitcnt vmcnt(0)
	ds_swizzle_b32 v2, v2 offset:swizzle(SWAP,4)
	ds_swizzle_b32 v3, v3 offset:swizzle(SWAP,4)
	v_cndmask_b32_e64 v11, 32, 40, vcc
	v_cndmask_b32_e64 v12, 48, 56, vcc
	s_waitcnt lgkmcnt(0)
	scratch_store_dwordx2 v36, v[2:3], off
	scratch_load_dwordx2 v[2:3], v34, off
	s_nop 0
	scratch_load_dwordx2 v[4:5], v6, off
	s_waitcnt vmcnt(1)
	ds_swizzle_b32 v2, v2 offset:swizzle(SWAP,4)
	ds_swizzle_b32 v3, v3 offset:swizzle(SWAP,4)
	s_waitcnt vmcnt(0)
	ds_swizzle_b32 v4, v4 offset:swizzle(SWAP,2)
	ds_swizzle_b32 v5, v5 offset:swizzle(SWAP,2)
	s_waitcnt lgkmcnt(2)
	scratch_store_dwordx2 v34, v[2:3], off
	scratch_load_dwordx2 v[2:3], v8, off
	s_waitcnt lgkmcnt(0)
	scratch_store_dwordx2 v6, v[4:5], off
	scratch_load_dwordx2 v[4:5], v7, off
	v_lshlrev_b32_e32 v6, 3, v1
	v_xor_b32_e32 v6, 8, v6
	v_or_b32_e32 v10, 0, v6
	v_cndmask_b32_e64 v1, 16, 24, vcc
	s_waitcnt vmcnt(0)
	ds_swizzle_b32 v4, v4 offset:swizzle(SWAP,2)
	ds_swizzle_b32 v5, v5 offset:swizzle(SWAP,2)
	s_waitcnt lgkmcnt(0)
	scratch_store_dwordx2 v7, v[4:5], off
	scratch_load_dwordx2 v[4:5], v10, off
	s_nop 0
	scratch_load_dwordx2 v[6:7], v1, off
	ds_swizzle_b32 v2, v2 offset:swizzle(SWAP,2)
	ds_swizzle_b32 v3, v3 offset:swizzle(SWAP,2)
	s_waitcnt lgkmcnt(0)
	scratch_store_dwordx2 v8, v[2:3], off
	scratch_load_dwordx2 v[2:3], v9, off
	s_waitcnt vmcnt(3)
	ds_swizzle_b32 v4, v4 offset:swizzle(SWAP,1)
	ds_swizzle_b32 v5, v5 offset:swizzle(SWAP,1)
	s_waitcnt vmcnt(2)
	ds_swizzle_b32 v6, v6 offset:swizzle(SWAP,1)
	ds_swizzle_b32 v7, v7 offset:swizzle(SWAP,1)
	s_waitcnt lgkmcnt(2)
	scratch_store_dwordx2 v10, v[4:5], off
	s_waitcnt lgkmcnt(0)
	scratch_store_dwordx2 v1, v[6:7], off
	s_waitcnt vmcnt(2)
	ds_swizzle_b32 v2, v2 offset:swizzle(SWAP,2)
	ds_swizzle_b32 v3, v3 offset:swizzle(SWAP,2)
	s_waitcnt lgkmcnt(0)
	scratch_store_dwordx2 v9, v[2:3], off
	scratch_load_dwordx2 v[2:3], v11, off
	s_nop 0
	scratch_load_dwordx2 v[8:9], v12, off
	scratch_load_dwordx4 v[18:21], off, off
	scratch_load_dwordx4 v[22:25], off, off offset:16
	s_waitcnt vmcnt(3)
	ds_swizzle_b32 v2, v2 offset:swizzle(SWAP,1)
	ds_swizzle_b32 v3, v3 offset:swizzle(SWAP,1)
	s_waitcnt vmcnt(2)
	ds_swizzle_b32 v4, v8 offset:swizzle(SWAP,1)
	ds_swizzle_b32 v5, v9 offset:swizzle(SWAP,1)
	s_waitcnt lgkmcnt(2)
	scratch_store_dwordx2 v11, v[2:3], off
	s_waitcnt lgkmcnt(0)
	scratch_store_dwordx2 v12, v[4:5], off
	scratch_load_dwordx4 v[26:29], off, off offset:32
	scratch_load_dwordx4 v[30:33], off, off offset:48
.LBB37_4:
	v_lshlrev_b32_e32 v0, 3, v0
	s_waitcnt vmcnt(5)
	global_store_dwordx4 v0, v[18:21], s[6:7]
	s_waitcnt vmcnt(5)
	global_store_dwordx4 v0, v[22:25], s[6:7] offset:16
	s_waitcnt vmcnt(3)
	global_store_dwordx4 v0, v[26:29], s[6:7] offset:32
	;; [unrolled: 2-line block ×3, first 2 shown]
	s_endpgm
	.section	.rodata,"a",@progbits
	.p2align	6, 0x0
	.amdhsa_kernel _Z20warp_exchange_kernelILj8ELj8EN6common25BlockedToStripedShuffleOpElEvPT2_S3_b
		.amdhsa_group_segment_fixed_size 0
		.amdhsa_private_segment_fixed_size 80
		.amdhsa_kernarg_size 20
		.amdhsa_user_sgpr_count 2
		.amdhsa_user_sgpr_dispatch_ptr 0
		.amdhsa_user_sgpr_queue_ptr 0
		.amdhsa_user_sgpr_kernarg_segment_ptr 1
		.amdhsa_user_sgpr_dispatch_id 0
		.amdhsa_user_sgpr_kernarg_preload_length 0
		.amdhsa_user_sgpr_kernarg_preload_offset 0
		.amdhsa_user_sgpr_private_segment_size 0
		.amdhsa_uses_dynamic_stack 0
		.amdhsa_enable_private_segment 1
		.amdhsa_system_sgpr_workgroup_id_x 1
		.amdhsa_system_sgpr_workgroup_id_y 0
		.amdhsa_system_sgpr_workgroup_id_z 0
		.amdhsa_system_sgpr_workgroup_info 0
		.amdhsa_system_vgpr_workitem_id 0
		.amdhsa_next_free_vgpr 39
		.amdhsa_next_free_sgpr 8
		.amdhsa_accum_offset 40
		.amdhsa_reserve_vcc 1
		.amdhsa_float_round_mode_32 0
		.amdhsa_float_round_mode_16_64 0
		.amdhsa_float_denorm_mode_32 3
		.amdhsa_float_denorm_mode_16_64 3
		.amdhsa_dx10_clamp 1
		.amdhsa_ieee_mode 1
		.amdhsa_fp16_overflow 0
		.amdhsa_tg_split 0
		.amdhsa_exception_fp_ieee_invalid_op 0
		.amdhsa_exception_fp_denorm_src 0
		.amdhsa_exception_fp_ieee_div_zero 0
		.amdhsa_exception_fp_ieee_overflow 0
		.amdhsa_exception_fp_ieee_underflow 0
		.amdhsa_exception_fp_ieee_inexact 0
		.amdhsa_exception_int_div_zero 0
	.end_amdhsa_kernel
	.section	.text._Z20warp_exchange_kernelILj8ELj8EN6common25BlockedToStripedShuffleOpElEvPT2_S3_b,"axG",@progbits,_Z20warp_exchange_kernelILj8ELj8EN6common25BlockedToStripedShuffleOpElEvPT2_S3_b,comdat
.Lfunc_end37:
	.size	_Z20warp_exchange_kernelILj8ELj8EN6common25BlockedToStripedShuffleOpElEvPT2_S3_b, .Lfunc_end37-_Z20warp_exchange_kernelILj8ELj8EN6common25BlockedToStripedShuffleOpElEvPT2_S3_b
                                        ; -- End function
	.section	.AMDGPU.csdata,"",@progbits
; Kernel info:
; codeLenInByte = 1468
; NumSgprs: 14
; NumVgprs: 39
; NumAgprs: 0
; TotalNumVgprs: 39
; ScratchSize: 80
; MemoryBound: 1
; FloatMode: 240
; IeeeMode: 1
; LDSByteSize: 0 bytes/workgroup (compile time only)
; SGPRBlocks: 1
; VGPRBlocks: 4
; NumSGPRsForWavesPerEU: 14
; NumVGPRsForWavesPerEU: 39
; AccumOffset: 40
; Occupancy: 8
; WaveLimiterHint : 0
; COMPUTE_PGM_RSRC2:SCRATCH_EN: 1
; COMPUTE_PGM_RSRC2:USER_SGPR: 2
; COMPUTE_PGM_RSRC2:TRAP_HANDLER: 0
; COMPUTE_PGM_RSRC2:TGID_X_EN: 1
; COMPUTE_PGM_RSRC2:TGID_Y_EN: 0
; COMPUTE_PGM_RSRC2:TGID_Z_EN: 0
; COMPUTE_PGM_RSRC2:TIDIG_COMP_CNT: 0
; COMPUTE_PGM_RSRC3_GFX90A:ACCUM_OFFSET: 9
; COMPUTE_PGM_RSRC3_GFX90A:TG_SPLIT: 0
	.section	.text._Z20warp_exchange_kernelILj32ELj32EN6common25BlockedToStripedShuffleOpEsEvPT2_S3_b,"axG",@progbits,_Z20warp_exchange_kernelILj32ELj32EN6common25BlockedToStripedShuffleOpEsEvPT2_S3_b,comdat
	.protected	_Z20warp_exchange_kernelILj32ELj32EN6common25BlockedToStripedShuffleOpEsEvPT2_S3_b ; -- Begin function _Z20warp_exchange_kernelILj32ELj32EN6common25BlockedToStripedShuffleOpEsEvPT2_S3_b
	.globl	_Z20warp_exchange_kernelILj32ELj32EN6common25BlockedToStripedShuffleOpEsEvPT2_S3_b
	.p2align	8
	.type	_Z20warp_exchange_kernelILj32ELj32EN6common25BlockedToStripedShuffleOpEsEvPT2_S3_b,@function
_Z20warp_exchange_kernelILj32ELj32EN6common25BlockedToStripedShuffleOpEsEvPT2_S3_b: ; @_Z20warp_exchange_kernelILj32ELj32EN6common25BlockedToStripedShuffleOpEsEvPT2_S3_b
; %bb.0:
	s_load_dwordx4 s[4:7], s[0:1], 0x0
	s_load_dword s2, s[0:1], 0x10
	v_lshlrev_b32_e32 v1, 6, v0
	v_lshlrev_b32_e32 v0, 5, v0
	s_waitcnt lgkmcnt(0)
	global_load_dwordx4 v[14:17], v1, s[4:5]
	global_load_dwordx4 v[10:13], v1, s[4:5] offset:16
	global_load_dwordx4 v[6:9], v1, s[4:5] offset:32
	;; [unrolled: 1-line block ×3, first 2 shown]
	v_mbcnt_lo_u32_b32 v1, -1, 0
	s_bitcmp0_b32 s2, 0
	v_mbcnt_hi_u32_b32 v1, -1, v1
	s_cbranch_scc0 .LBB38_2
; %bb.1:
	v_and_b32_e32 v18, 16, v1
	v_lshlrev_b32_e32 v19, 1, v18
	s_waitcnt vmcnt(3)
	scratch_store_dwordx4 off, v[14:17], off
	s_waitcnt vmcnt(3)
	scratch_store_dwordx4 off, v[10:13], off offset:16
	s_waitcnt vmcnt(3)
	scratch_store_dwordx4 off, v[6:9], off offset:32
	v_xor_b32_e32 v19, 32, v19
	scratch_load_ushort v20, v19, off
	v_cmp_eq_u32_e32 vcc, 0, v18
	s_waitcnt vmcnt(4)
	scratch_store_dwordx4 off, v[2:5], off offset:48
	s_waitcnt vmcnt(1)
	ds_swizzle_b32 v20, v20 offset:swizzle(SWAP,16)
	v_cndmask_b32_e64 v18, 2, 34, vcc
	v_cndmask_b32_e64 v23, 20, 52, vcc
	;; [unrolled: 1-line block ×3, first 2 shown]
	s_waitcnt lgkmcnt(0)
	scratch_store_short v19, v20, off
	scratch_load_ushort v19, v18, off
	v_cndmask_b32_e64 v20, 4, 36, vcc
	s_waitcnt vmcnt(0)
	ds_swizzle_b32 v19, v19 offset:swizzle(SWAP,16)
	s_waitcnt lgkmcnt(0)
	scratch_store_short v18, v19, off
	scratch_load_ushort v18, v20, off
	v_cndmask_b32_e64 v19, 6, 38, vcc
	s_waitcnt vmcnt(0)
	ds_swizzle_b32 v18, v18 offset:swizzle(SWAP,16)
	;; [unrolled: 6-line block ×8, first 2 shown]
	s_waitcnt lgkmcnt(0)
	scratch_store_short v20, v18, off
	scratch_load_ushort v18, v19, off
	v_and_b32_e32 v20, 8, v1
	v_lshlrev_b32_e32 v21, 1, v20
	v_xor_b32_e32 v21, 16, v21
	scratch_load_ushort v22, v21, off
	v_cmp_eq_u32_e64 s[0:1], 0, v20
	s_waitcnt vmcnt(1)
	ds_swizzle_b32 v18, v18 offset:swizzle(SWAP,16)
	v_cndmask_b32_e64 v20, 2, 18, s[0:1]
	s_waitcnt lgkmcnt(0)
	scratch_store_short v19, v18, off
	scratch_load_ushort v18, v23, off
	s_waitcnt vmcnt(2)
	ds_swizzle_b32 v19, v22 offset:swizzle(SWAP,8)
	v_cndmask_b32_e64 v22, 4, 20, s[0:1]
	s_waitcnt lgkmcnt(0)
	scratch_store_short v21, v19, off
	scratch_load_ushort v19, v20, off
	v_cndmask_b32_e64 v21, 22, 54, vcc
	s_waitcnt vmcnt(2)
	ds_swizzle_b32 v18, v18 offset:swizzle(SWAP,16)
	s_waitcnt lgkmcnt(0)
	scratch_store_short v23, v18, off
	scratch_load_ushort v18, v21, off
	s_waitcnt vmcnt(2)
	ds_swizzle_b32 v19, v19 offset:swizzle(SWAP,8)
	s_waitcnt lgkmcnt(0)
	scratch_store_short v20, v19, off
	scratch_load_ushort v19, v22, off
	v_cndmask_b32_e64 v20, 24, 56, vcc
	s_waitcnt vmcnt(2)
	ds_swizzle_b32 v18, v18 offset:swizzle(SWAP,16)
	s_waitcnt lgkmcnt(0)
	scratch_store_short v21, v18, off
	scratch_load_ushort v18, v20, off
	s_waitcnt vmcnt(2)
	ds_swizzle_b32 v19, v19 offset:swizzle(SWAP,8)
	v_cndmask_b32_e64 v21, 6, 22, s[0:1]
	s_waitcnt lgkmcnt(0)
	scratch_store_short v22, v19, off
	scratch_load_ushort v19, v21, off
	v_cndmask_b32_e64 v22, 26, 58, vcc
	s_waitcnt vmcnt(2)
	ds_swizzle_b32 v18, v18 offset:swizzle(SWAP,16)
	s_waitcnt lgkmcnt(0)
	scratch_store_short v20, v18, off
	scratch_load_ushort v18, v22, off
	s_waitcnt vmcnt(2)
	ds_swizzle_b32 v19, v19 offset:swizzle(SWAP,8)
	v_cndmask_b32_e64 v20, 8, 24, s[0:1]
	;; [unrolled: 12-line block ×3, first 2 shown]
	s_waitcnt lgkmcnt(0)
	scratch_store_short v20, v19, off
	scratch_load_ushort v19, v22, off
	v_and_b32_e32 v20, 4, v1
	v_lshlrev_b32_e32 v23, 1, v20
	v_xor_b32_e32 v23, 8, v23
	v_or_b32_e32 v23, 0, v23
	scratch_load_ushort v24, v23, off
	v_cmp_eq_u32_e32 vcc, 0, v20
	s_waitcnt vmcnt(3)
	ds_swizzle_b32 v18, v18 offset:swizzle(SWAP,16)
	v_cndmask_b32_e64 v20, 2, 10, vcc
	v_or_b32_e32 v20, 0, v20
	v_cndmask_b32_e64 v26, 6, 14, vcc
	v_or_b32_e32 v26, 0, v26
	s_waitcnt lgkmcnt(0)
	scratch_store_short v21, v18, off
	scratch_load_ushort v18, v25, off
	s_waitcnt vmcnt(3)
	ds_swizzle_b32 v19, v19 offset:swizzle(SWAP,8)
	v_cndmask_b32_e64 v21, 12, 28, s[0:1]
	v_cndmask_b32_e64 v34, 48, 56, vcc
	v_cndmask_b32_e64 v36, 50, 58, vcc
	s_waitcnt lgkmcnt(0)
	scratch_store_short v22, v19, off
	scratch_load_ushort v22, v21, off
	s_waitcnt vmcnt(4)
	ds_swizzle_b32 v19, v24 offset:swizzle(SWAP,4)
	v_cndmask_b32_e64 v24, 14, 30, s[0:1]
	s_waitcnt lgkmcnt(0)
	scratch_store_short v23, v19, off
	scratch_load_ushort v19, v20, off
	v_cndmask_b32_e64 v23, 32, 48, s[0:1]
	s_waitcnt vmcnt(4)
	ds_swizzle_b32 v18, v18 offset:swizzle(SWAP,16)
	s_waitcnt lgkmcnt(0)
	scratch_store_short v25, v18, off
	scratch_load_ushort v18, v23, off
	s_waitcnt vmcnt(4)
	ds_swizzle_b32 v22, v22 offset:swizzle(SWAP,8)
	s_waitcnt lgkmcnt(0)
	scratch_store_short v21, v22, off
	scratch_load_ushort v21, v24, off
	s_waitcnt vmcnt(4)
	ds_swizzle_b32 v19, v19 offset:swizzle(SWAP,4)
	v_cndmask_b32_e64 v22, 4, 12, vcc
	v_or_b32_e32 v22, 0, v22
	s_waitcnt lgkmcnt(0)
	scratch_store_short v20, v19, off
	scratch_load_ushort v19, v22, off
	v_cndmask_b32_e64 v20, 34, 50, s[0:1]
	s_waitcnt vmcnt(4)
	ds_swizzle_b32 v18, v18 offset:swizzle(SWAP,8)
	s_waitcnt lgkmcnt(0)
	scratch_store_short v23, v18, off
	scratch_load_ushort v18, v20, off
	s_waitcnt vmcnt(4)
	ds_swizzle_b32 v21, v21 offset:swizzle(SWAP,8)
	v_and_b32_e32 v23, 2, v1
	v_lshlrev_b32_e32 v25, 1, v23
	v_xor_b32_e32 v25, 4, v25
	v_or_b32_e32 v25, 0, v25
	v_cmp_eq_u32_e64 s[2:3], 0, v23
	v_cndmask_b32_e64 v23, 16, 24, vcc
	s_waitcnt vmcnt(2)
	ds_swizzle_b32 v19, v19 offset:swizzle(SWAP,4)
	s_waitcnt lgkmcnt(1)
	scratch_store_short v24, v21, off
	s_waitcnt lgkmcnt(0)
	scratch_store_short v22, v19, off
	scratch_load_ushort v19, v26, off
	s_nop 0
	scratch_load_ushort v21, v25, off
	v_cndmask_b32_e64 v22, 36, 52, s[0:1]
	v_cndmask_b32_e64 v27, 8, 12, s[2:3]
	v_or_b32_e32 v27, 0, v27
	v_cndmask_b32_e64 v28, 10, 14, s[2:3]
	v_cndmask_b32_e64 v29, 16, 20, s[2:3]
	;; [unrolled: 1-line block ×4, first 2 shown]
	scratch_load_ushort v24, v23, off
	s_waitcnt vmcnt(5)
	ds_swizzle_b32 v18, v18 offset:swizzle(SWAP,8)
	s_waitcnt lgkmcnt(0)
	scratch_store_short v20, v18, off
	scratch_load_ushort v18, v22, off
	v_cndmask_b32_e64 v20, 2, 6, s[2:3]
	v_or_b32_e32 v20, 0, v20
	s_waitcnt vmcnt(4)
	ds_swizzle_b32 v19, v19 offset:swizzle(SWAP,4)
	s_waitcnt vmcnt(3)
	ds_swizzle_b32 v21, v21 offset:swizzle(SWAP,2)
	s_waitcnt lgkmcnt(1)
	scratch_store_short v26, v19, off
	s_waitcnt lgkmcnt(0)
	scratch_store_short v25, v21, off
	scratch_load_ushort v19, v20, off
	v_cndmask_b32_e64 v21, 38, 54, s[0:1]
	v_cndmask_b32_e64 v26, 18, 26, vcc
	s_waitcnt vmcnt(5)
	ds_swizzle_b32 v24, v24 offset:swizzle(SWAP,4)
	s_waitcnt lgkmcnt(0)
	scratch_store_short v23, v24, off
	scratch_load_ushort v23, v26, off
	s_waitcnt vmcnt(5)
	ds_swizzle_b32 v18, v18 offset:swizzle(SWAP,8)
	s_waitcnt lgkmcnt(0)
	scratch_store_short v22, v18, off
	scratch_load_ushort v18, v21, off
	v_and_b32_e32 v22, 1, v1
	v_lshlrev_b32_e32 v25, 1, v22
	v_xor_b32_e32 v25, 2, v25
	v_or_b32_e32 v24, 0, v25
	v_cndmask_b32_e64 v25, 40, 56, s[0:1]
	s_waitcnt vmcnt(4)
	ds_swizzle_b32 v19, v19 offset:swizzle(SWAP,2)
	v_cmp_eq_u32_e64 s[4:5], 0, v22
	s_waitcnt lgkmcnt(0)
	scratch_store_short v20, v19, off
	scratch_load_ushort v19, v27, off
	s_nop 0
	scratch_load_ushort v20, v24, off
	v_cndmask_b32_e64 v30, 8, 10, s[4:5]
	v_or_b32_e32 v30, 0, v30
	v_cndmask_b32_e64 v33, 12, 14, s[4:5]
	v_cndmask_b32_e64 v35, 20, 22, s[4:5]
	;; [unrolled: 1-line block ×9, first 2 shown]
	s_waitcnt vmcnt(5)
	ds_swizzle_b32 v22, v23 offset:swizzle(SWAP,4)
	v_cndmask_b32_e64 v23, 20, 28, vcc
	s_waitcnt lgkmcnt(0)
	scratch_store_short v26, v22, off
	v_or_b32_e32 v26, 0, v28
	v_cndmask_b32_e64 v28, 42, 58, s[0:1]
	scratch_load_ushort v22, v23, off
	s_waitcnt vmcnt(5)
	ds_swizzle_b32 v18, v18 offset:swizzle(SWAP,8)
	s_waitcnt lgkmcnt(0)
	scratch_store_short v21, v18, off
	scratch_load_ushort v18, v25, off
	v_cndmask_b32_e64 v21, 4, 6, s[4:5]
	v_or_b32_e32 v21, 0, v21
	s_waitcnt vmcnt(5)
	ds_swizzle_b32 v19, v19 offset:swizzle(SWAP,2)
	s_waitcnt lgkmcnt(0)
	scratch_store_short v27, v19, off
	scratch_load_ushort v19, v26, off
	s_nop 0
	scratch_load_ushort v27, v21, off
	s_waitcnt vmcnt(5)
	ds_swizzle_b32 v22, v22 offset:swizzle(SWAP,4)
	s_waitcnt lgkmcnt(0)
	scratch_store_short v23, v22, off
	s_waitcnt vmcnt(4)
	ds_swizzle_b32 v18, v18 offset:swizzle(SWAP,8)
	s_waitcnt lgkmcnt(0)
	scratch_store_short v25, v18, off
	scratch_load_ushort v18, v28, off
	v_cndmask_b32_e64 v25, 22, 30, vcc
	scratch_load_ushort v22, v25, off
	scratch_load_ushort v23, v29, off
	s_waitcnt vmcnt(6)
	ds_swizzle_b32 v19, v19 offset:swizzle(SWAP,2)
	s_waitcnt lgkmcnt(0)
	scratch_store_short v26, v19, off
	v_cndmask_b32_e64 v26, 44, 60, s[0:1]
	scratch_load_ushort v19, v30, off
	s_waitcnt vmcnt(4)
	ds_swizzle_b32 v18, v18 offset:swizzle(SWAP,8)
	s_waitcnt vmcnt(3)
	ds_swizzle_b32 v22, v22 offset:swizzle(SWAP,4)
	;; [unrolled: 2-line block ×3, first 2 shown]
	s_waitcnt lgkmcnt(2)
	scratch_store_short v28, v18, off
	scratch_load_ushort v18, v26, off
	v_cndmask_b32_e64 v28, 32, 40, vcc
	scratch_load_ushort v31, v28, off
	s_waitcnt lgkmcnt(1)
	scratch_store_short v25, v22, off
	s_waitcnt lgkmcnt(0)
	scratch_store_short v29, v23, off
	scratch_load_ushort v22, v32, off
	v_or_b32_e32 v23, 0, v33
	v_cndmask_b32_e64 v29, 46, 62, s[0:1]
	scratch_load_ushort v25, v23, off
	v_cndmask_b32_e64 v33, 16, 18, s[4:5]
	s_waitcnt vmcnt(7)
	ds_swizzle_b32 v19, v19 offset:swizzle(SWAP,1)
	s_waitcnt vmcnt(5)
	ds_swizzle_b32 v18, v18 offset:swizzle(SWAP,8)
	s_waitcnt lgkmcnt(0)
	scratch_store_short v26, v18, off
	scratch_load_ushort v18, v29, off
	s_waitcnt vmcnt(6)
	ds_swizzle_b32 v26, v31 offset:swizzle(SWAP,4)
	v_cndmask_b32_e64 v31, 34, 42, vcc
	s_waitcnt lgkmcnt(0)
	scratch_store_short v28, v26, off
	scratch_load_ushort v26, v31, off
	s_waitcnt vmcnt(5)
	ds_swizzle_b32 v22, v22 offset:swizzle(SWAP,2)
	v_cndmask_b32_e64 v28, 24, 28, s[2:3]
	s_waitcnt lgkmcnt(0)
	scratch_store_short v32, v22, off
	scratch_load_ushort v22, v28, off
	s_nop 0
	scratch_load_ushort v32, v33, off
	s_waitcnt vmcnt(5)
	ds_swizzle_b32 v18, v18 offset:swizzle(SWAP,8)
	s_waitcnt lgkmcnt(0)
	scratch_store_short v29, v18, off
	scratch_load_ushort v18, v34, off
	s_waitcnt vmcnt(5)
	ds_swizzle_b32 v26, v26 offset:swizzle(SWAP,4)
	v_cndmask_b32_e64 v29, 36, 44, vcc
	s_waitcnt lgkmcnt(0)
	scratch_store_short v31, v26, off
	scratch_load_ushort v26, v29, off
	s_waitcnt vmcnt(5)
	ds_swizzle_b32 v22, v22 offset:swizzle(SWAP,2)
	v_cndmask_b32_e64 v31, 26, 30, s[2:3]
	s_waitcnt lgkmcnt(0)
	scratch_store_short v28, v22, off
	scratch_load_ushort v22, v31, off
	s_nop 0
	scratch_load_ushort v28, v35, off
	s_waitcnt vmcnt(5)
	ds_swizzle_b32 v18, v18 offset:swizzle(SWAP,4)
	s_waitcnt lgkmcnt(0)
	scratch_store_short v34, v18, off
	scratch_load_ushort v18, v36, off
	s_waitcnt vmcnt(5)
	ds_swizzle_b32 v26, v26 offset:swizzle(SWAP,4)
	v_cndmask_b32_e64 v34, 38, 46, vcc
	s_waitcnt lgkmcnt(0)
	scratch_store_short v29, v26, off
	s_waitcnt vmcnt(4)
	ds_swizzle_b32 v22, v22 offset:swizzle(SWAP,2)
	v_cndmask_b32_e64 v29, 32, 36, s[2:3]
	scratch_load_ushort v38, v29, off
	s_waitcnt vmcnt(4)
	ds_swizzle_b32 v28, v28 offset:swizzle(SWAP,1)
	s_waitcnt lgkmcnt(1)
	scratch_store_short v31, v22, off
	scratch_load_ushort v22, v37, off
	s_nop 0
	scratch_load_ushort v26, v34, off
	v_cndmask_b32_e64 v31, 52, 60, vcc
	s_waitcnt vmcnt(5)
	ds_swizzle_b32 v18, v18 offset:swizzle(SWAP,4)
	s_waitcnt lgkmcnt(0)
	scratch_store_short v36, v18, off
	scratch_load_ushort v36, v31, off
	ds_swizzle_b32 v18, v20 offset:swizzle(SWAP,1)
	ds_swizzle_b32 v20, v25 offset:swizzle(SWAP,1)
	s_waitcnt vmcnt(5)
	ds_swizzle_b32 v25, v38 offset:swizzle(SWAP,2)
	v_cndmask_b32_e64 v38, 50, 54, s[2:3]
	s_waitcnt lgkmcnt(2)
	scratch_store_short v24, v18, off
	ds_swizzle_b32 v18, v27 offset:swizzle(SWAP,1)
	s_waitcnt vmcnt(3)
	ds_swizzle_b32 v24, v26 offset:swizzle(SWAP,4)
	s_waitcnt lgkmcnt(1)
	scratch_store_short v21, v18, off
	scratch_store_short v30, v19, off
	;; [unrolled: 1-line block ×3, first 2 shown]
	s_waitcnt lgkmcnt(0)
	scratch_store_short v34, v24, off
	scratch_store_short v29, v25, off
	scratch_load_ushort v23, v39, off
	s_nop 0
	scratch_load_ushort v24, v40, off
	scratch_load_dwordx4 v[18:21], off, off
	v_cndmask_b32_e64 v26, 54, 62, vcc
	v_cndmask_b32_e64 v27, 40, 44, s[2:3]
	v_cndmask_b32_e64 v29, 48, 52, s[2:3]
	;; [unrolled: 1-line block ×3, first 2 shown]
	ds_swizzle_b32 v22, v22 offset:swizzle(SWAP,1)
	s_waitcnt vmcnt(9)
	ds_swizzle_b32 v25, v36 offset:swizzle(SWAP,4)
	v_cndmask_b32_e64 v36, 56, 60, s[2:3]
	s_waitcnt lgkmcnt(0)
	scratch_store_short v31, v25, off
	scratch_load_ushort v25, v26, off
	s_nop 0
	scratch_load_ushort v30, v27, off
	scratch_load_ushort v31, v29, off
	s_waitcnt vmcnt(6)
	ds_swizzle_b32 v23, v23 offset:swizzle(SWAP,2)
	s_waitcnt vmcnt(5)
	ds_swizzle_b32 v24, v24 offset:swizzle(SWAP,1)
	s_waitcnt lgkmcnt(1)
	scratch_store_short v39, v23, off
	scratch_load_ushort v23, v34, off
	v_cndmask_b32_e64 v39, 58, 62, s[2:3]
	s_waitcnt vmcnt(4)
	ds_swizzle_b32 v25, v25 offset:swizzle(SWAP,4)
	s_waitcnt lgkmcnt(0)
	scratch_store_short v26, v25, off
	scratch_load_ushort v25, v36, off
	s_waitcnt vmcnt(5)
	ds_swizzle_b32 v26, v30 offset:swizzle(SWAP,2)
	s_waitcnt vmcnt(4)
	ds_swizzle_b32 v30, v31 offset:swizzle(SWAP,2)
	v_cndmask_b32_e64 v31, 42, 46, s[2:3]
	s_waitcnt lgkmcnt(1)
	scratch_store_short v27, v26, off
	s_waitcnt lgkmcnt(0)
	scratch_store_short v29, v30, off
	scratch_load_ushort v26, v31, off
	scratch_load_ushort v27, v38, off
	v_cndmask_b32_e64 v29, 36, 38, s[4:5]
	scratch_load_ushort v30, v29, off
	s_waitcnt vmcnt(7)
	ds_swizzle_b32 v23, v23 offset:swizzle(SWAP,1)
	s_waitcnt vmcnt(5)
	ds_swizzle_b32 v25, v25 offset:swizzle(SWAP,2)
	s_waitcnt lgkmcnt(0)
	scratch_store_short v36, v25, off
	scratch_load_ushort v25, v39, off
	s_waitcnt vmcnt(4)
	ds_swizzle_b32 v26, v26 offset:swizzle(SWAP,2)
	s_waitcnt vmcnt(3)
	ds_swizzle_b32 v27, v27 offset:swizzle(SWAP,2)
	v_cndmask_b32_e64 v36, 40, 42, s[4:5]
	s_waitcnt lgkmcnt(1)
	scratch_store_short v31, v26, off
	s_waitcnt lgkmcnt(0)
	scratch_store_short v38, v27, off
	scratch_load_ushort v26, v36, off
	s_nop 0
	scratch_load_ushort v27, v41, off
	scratch_load_ushort v31, v42, off
	;; [unrolled: 1-line block ×3, first 2 shown]
	s_waitcnt vmcnt(6)
	ds_swizzle_b32 v25, v25 offset:swizzle(SWAP,2)
	s_waitcnt lgkmcnt(0)
	scratch_store_short v39, v25, off
	scratch_load_ushort v39, v44, off
	s_nop 0
	scratch_load_ushort v46, v45, off
	ds_swizzle_b32 v25, v32 offset:swizzle(SWAP,1)
	scratch_store_short v35, v28, off
	s_waitcnt vmcnt(4)
	ds_swizzle_b32 v28, v38 offset:swizzle(SWAP,1)
	s_waitcnt lgkmcnt(1)
	scratch_store_short v33, v25, off
	ds_swizzle_b32 v25, v30 offset:swizzle(SWAP,1)
	scratch_store_short v37, v22, off
	scratch_store_short v40, v24, off
	;; [unrolled: 1-line block ×3, first 2 shown]
	ds_swizzle_b32 v22, v26 offset:swizzle(SWAP,1)
	ds_swizzle_b32 v26, v27 offset:swizzle(SWAP,1)
	;; [unrolled: 1-line block ×3, first 2 shown]
	s_waitcnt lgkmcnt(3)
	scratch_store_short v29, v25, off
	s_waitcnt lgkmcnt(2)
	scratch_store_short v36, v22, off
	scratch_load_dwordx4 v[22:25], off, off offset:16
	s_waitcnt vmcnt(9)
	ds_swizzle_b32 v29, v39 offset:swizzle(SWAP,1)
	s_waitcnt vmcnt(8)
	ds_swizzle_b32 v30, v46 offset:swizzle(SWAP,1)
	s_waitcnt lgkmcnt(3)
	scratch_store_short v41, v26, off
	s_waitcnt lgkmcnt(2)
	scratch_store_short v42, v27, off
	scratch_store_short v43, v28, off
	s_waitcnt lgkmcnt(1)
	scratch_store_short v44, v29, off
	s_waitcnt lgkmcnt(0)
	scratch_store_short v45, v30, off
	scratch_load_dwordx4 v[26:29], off, off offset:32
	s_nop 0
	scratch_load_dwordx4 v[30:33], off, off offset:48
	s_cbranch_execz .LBB38_3
	s_branch .LBB38_4
.LBB38_2:
                                        ; implicit-def: $vgpr32_vgpr33
                                        ; implicit-def: $vgpr28_vgpr29
                                        ; implicit-def: $vgpr24_vgpr25
                                        ; implicit-def: $vgpr20_vgpr21
.LBB38_3:
	s_waitcnt vmcnt(3)
	scratch_store_dwordx4 off, v[14:17], off
	s_waitcnt vmcnt(3)
	scratch_store_dwordx4 off, v[10:13], off offset:16
	s_waitcnt vmcnt(3)
	scratch_store_dwordx4 off, v[6:9], off offset:32
	s_waitcnt vmcnt(3)
	scratch_store_dwordx4 off, v[2:5], off offset:48
	v_and_b32_e32 v6, 16, v1
	v_lshlrev_b32_e32 v7, 1, v6
	v_xor_b32_e32 v7, 32, v7
	scratch_load_ushort v8, v7, off
	v_cmp_eq_u32_e32 vcc, 0, v6
	s_waitcnt vmcnt(0)
	ds_swizzle_b32 v8, v8 offset:swizzle(SWAP,16)
	v_cndmask_b32_e64 v6, 2, 34, vcc
	v_cndmask_b32_e64 v2, 16, 48, vcc
	;; [unrolled: 1-line block ×4, first 2 shown]
	s_waitcnt lgkmcnt(0)
	scratch_store_short v7, v8, off
	scratch_load_ushort v7, v6, off
	v_cndmask_b32_e64 v8, 4, 36, vcc
	s_waitcnt vmcnt(0)
	ds_swizzle_b32 v7, v7 offset:swizzle(SWAP,16)
	s_waitcnt lgkmcnt(0)
	scratch_store_short v6, v7, off
	scratch_load_ushort v6, v8, off
	v_cndmask_b32_e64 v7, 6, 38, vcc
	s_waitcnt vmcnt(0)
	ds_swizzle_b32 v6, v6 offset:swizzle(SWAP,16)
	;; [unrolled: 6-line block ×6, first 2 shown]
	s_waitcnt lgkmcnt(0)
	scratch_store_short v8, v6, off
	scratch_load_ushort v6, v7, off
	s_waitcnt vmcnt(0)
	ds_swizzle_b32 v6, v6 offset:swizzle(SWAP,16)
	s_waitcnt lgkmcnt(0)
	scratch_store_short v7, v6, off
	scratch_load_ushort v3, v2, off
	v_cndmask_b32_e64 v7, 20, 52, vcc
	s_waitcnt vmcnt(0)
	ds_swizzle_b32 v3, v3 offset:swizzle(SWAP,16)
	s_waitcnt lgkmcnt(0)
	scratch_store_short v2, v3, off
	scratch_load_ushort v2, v4, off
	v_and_b32_e32 v3, 8, v1
	v_lshlrev_b32_e32 v5, 1, v3
	v_xor_b32_e32 v5, 16, v5
	scratch_load_ushort v6, v5, off
	v_cmp_eq_u32_e64 s[0:1], 0, v3
	s_waitcnt vmcnt(1)
	ds_swizzle_b32 v2, v2 offset:swizzle(SWAP,16)
	v_cndmask_b32_e64 v3, 2, 18, s[0:1]
	s_waitcnt lgkmcnt(0)
	scratch_store_short v4, v2, off
	scratch_load_ushort v2, v7, off
	s_waitcnt vmcnt(2)
	ds_swizzle_b32 v4, v6 offset:swizzle(SWAP,8)
	v_cndmask_b32_e64 v6, 4, 20, s[0:1]
	s_waitcnt lgkmcnt(0)
	scratch_store_short v5, v4, off
	scratch_load_ushort v4, v3, off
	v_cndmask_b32_e64 v5, 22, 54, vcc
	s_waitcnt vmcnt(2)
	ds_swizzle_b32 v2, v2 offset:swizzle(SWAP,16)
	s_waitcnt lgkmcnt(0)
	scratch_store_short v7, v2, off
	scratch_load_ushort v2, v5, off
	s_waitcnt vmcnt(2)
	ds_swizzle_b32 v4, v4 offset:swizzle(SWAP,8)
	s_waitcnt lgkmcnt(0)
	scratch_store_short v3, v4, off
	scratch_load_ushort v3, v6, off
	v_cndmask_b32_e64 v4, 24, 56, vcc
	s_waitcnt vmcnt(2)
	ds_swizzle_b32 v2, v2 offset:swizzle(SWAP,16)
	s_waitcnt lgkmcnt(0)
	scratch_store_short v5, v2, off
	scratch_load_ushort v2, v4, off
	s_waitcnt vmcnt(2)
	ds_swizzle_b32 v3, v3 offset:swizzle(SWAP,8)
	v_cndmask_b32_e64 v5, 6, 22, s[0:1]
	s_waitcnt lgkmcnt(0)
	scratch_store_short v6, v3, off
	scratch_load_ushort v3, v5, off
	v_cndmask_b32_e64 v6, 26, 58, vcc
	s_waitcnt vmcnt(2)
	ds_swizzle_b32 v2, v2 offset:swizzle(SWAP,16)
	s_waitcnt lgkmcnt(0)
	scratch_store_short v4, v2, off
	scratch_load_ushort v2, v6, off
	s_waitcnt vmcnt(2)
	ds_swizzle_b32 v3, v3 offset:swizzle(SWAP,8)
	v_cndmask_b32_e64 v4, 8, 24, s[0:1]
	;; [unrolled: 12-line block ×3, first 2 shown]
	s_waitcnt lgkmcnt(0)
	scratch_store_short v4, v3, off
	scratch_load_ushort v3, v6, off
	v_and_b32_e32 v4, 4, v1
	v_lshlrev_b32_e32 v7, 1, v4
	v_xor_b32_e32 v7, 8, v7
	v_or_b32_e32 v7, 0, v7
	scratch_load_ushort v8, v7, off
	v_cmp_eq_u32_e32 vcc, 0, v4
	s_waitcnt vmcnt(3)
	ds_swizzle_b32 v2, v2 offset:swizzle(SWAP,16)
	v_cndmask_b32_e64 v4, 2, 10, vcc
	v_or_b32_e32 v4, 0, v4
	v_cndmask_b32_e64 v10, 6, 14, vcc
	v_or_b32_e32 v10, 0, v10
	s_waitcnt lgkmcnt(0)
	scratch_store_short v5, v2, off
	scratch_load_ushort v2, v9, off
	s_waitcnt vmcnt(3)
	ds_swizzle_b32 v3, v3 offset:swizzle(SWAP,8)
	v_cndmask_b32_e64 v5, 12, 28, s[0:1]
	v_cndmask_b32_e64 v17, 48, 56, vcc
	v_cndmask_b32_e64 v18, 50, 58, vcc
	s_waitcnt lgkmcnt(0)
	scratch_store_short v6, v3, off
	scratch_load_ushort v6, v5, off
	s_waitcnt vmcnt(4)
	ds_swizzle_b32 v3, v8 offset:swizzle(SWAP,4)
	v_cndmask_b32_e64 v8, 14, 30, s[0:1]
	s_waitcnt lgkmcnt(0)
	scratch_store_short v7, v3, off
	scratch_load_ushort v3, v4, off
	v_cndmask_b32_e64 v7, 32, 48, s[0:1]
	s_waitcnt vmcnt(4)
	ds_swizzle_b32 v2, v2 offset:swizzle(SWAP,16)
	s_waitcnt lgkmcnt(0)
	scratch_store_short v9, v2, off
	scratch_load_ushort v2, v7, off
	s_waitcnt vmcnt(4)
	ds_swizzle_b32 v6, v6 offset:swizzle(SWAP,8)
	s_waitcnt lgkmcnt(0)
	scratch_store_short v5, v6, off
	scratch_load_ushort v5, v8, off
	s_waitcnt vmcnt(4)
	ds_swizzle_b32 v3, v3 offset:swizzle(SWAP,4)
	v_cndmask_b32_e64 v6, 4, 12, vcc
	v_or_b32_e32 v6, 0, v6
	s_waitcnt lgkmcnt(0)
	scratch_store_short v4, v3, off
	scratch_load_ushort v3, v6, off
	v_cndmask_b32_e64 v4, 34, 50, s[0:1]
	s_waitcnt vmcnt(4)
	ds_swizzle_b32 v2, v2 offset:swizzle(SWAP,8)
	s_waitcnt lgkmcnt(0)
	scratch_store_short v7, v2, off
	scratch_load_ushort v2, v4, off
	s_waitcnt vmcnt(4)
	ds_swizzle_b32 v5, v5 offset:swizzle(SWAP,8)
	v_and_b32_e32 v7, 2, v1
	v_lshlrev_b32_e32 v9, 1, v7
	v_xor_b32_e32 v9, 4, v9
	v_or_b32_e32 v9, 0, v9
	v_cmp_eq_u32_e64 s[2:3], 0, v7
	v_cndmask_b32_e64 v7, 16, 24, vcc
	s_waitcnt vmcnt(2)
	ds_swizzle_b32 v3, v3 offset:swizzle(SWAP,4)
	s_waitcnt lgkmcnt(1)
	scratch_store_short v8, v5, off
	s_waitcnt lgkmcnt(0)
	scratch_store_short v6, v3, off
	scratch_load_ushort v3, v10, off
	s_nop 0
	scratch_load_ushort v5, v9, off
	v_cndmask_b32_e64 v6, 36, 52, s[0:1]
	v_and_b32_e32 v1, 1, v1
	v_cmp_eq_u32_e64 s[4:5], 0, v1
	v_cndmask_b32_e64 v11, 10, 14, s[2:3]
	v_cndmask_b32_e64 v12, 16, 20, s[2:3]
	;; [unrolled: 1-line block ×3, first 2 shown]
	v_or_b32_e32 v13, 0, v13
	v_cndmask_b32_e64 v15, 18, 22, s[2:3]
	v_cndmask_b32_e64 v16, 12, 14, s[4:5]
	;; [unrolled: 1-line block ×10, first 2 shown]
	scratch_load_ushort v8, v7, off
	s_waitcnt vmcnt(5)
	ds_swizzle_b32 v2, v2 offset:swizzle(SWAP,8)
	s_waitcnt lgkmcnt(0)
	scratch_store_short v4, v2, off
	scratch_load_ushort v2, v6, off
	v_cndmask_b32_e64 v4, 2, 6, s[2:3]
	v_or_b32_e32 v4, 0, v4
	s_waitcnt vmcnt(4)
	ds_swizzle_b32 v3, v3 offset:swizzle(SWAP,4)
	s_waitcnt vmcnt(3)
	ds_swizzle_b32 v5, v5 offset:swizzle(SWAP,2)
	s_waitcnt lgkmcnt(1)
	scratch_store_short v10, v3, off
	s_waitcnt lgkmcnt(0)
	scratch_store_short v9, v5, off
	scratch_load_ushort v3, v4, off
	v_cndmask_b32_e64 v5, 38, 54, s[0:1]
	v_cndmask_b32_e64 v9, 18, 26, vcc
	v_cndmask_b32_e64 v10, 8, 12, s[2:3]
	v_or_b32_e32 v10, 0, v10
	s_waitcnt vmcnt(5)
	ds_swizzle_b32 v8, v8 offset:swizzle(SWAP,4)
	s_waitcnt lgkmcnt(0)
	scratch_store_short v7, v8, off
	v_cndmask_b32_e64 v8, 40, 56, s[0:1]
	scratch_load_ushort v7, v9, off
	s_waitcnt vmcnt(5)
	ds_swizzle_b32 v2, v2 offset:swizzle(SWAP,8)
	s_waitcnt lgkmcnt(0)
	scratch_store_short v6, v2, off
	scratch_load_ushort v2, v5, off
	v_lshlrev_b32_e32 v6, 1, v1
	v_xor_b32_e32 v6, 2, v6
	v_or_b32_e32 v6, 0, v6
	v_cndmask_b32_e64 v1, 4, 6, s[4:5]
	v_or_b32_e32 v1, 0, v1
	s_waitcnt vmcnt(4)
	ds_swizzle_b32 v3, v3 offset:swizzle(SWAP,2)
	s_waitcnt lgkmcnt(0)
	scratch_store_short v4, v3, off
	scratch_load_ushort v3, v10, off
	s_nop 0
	scratch_load_ushort v4, v6, off
	s_waitcnt vmcnt(3)
	ds_swizzle_b32 v2, v2 offset:swizzle(SWAP,8)
	s_waitcnt lgkmcnt(0)
	scratch_store_short v5, v2, off
	scratch_load_ushort v2, v8, off
	ds_swizzle_b32 v5, v7 offset:swizzle(SWAP,4)
	v_cndmask_b32_e64 v7, 20, 28, vcc
	s_waitcnt vmcnt(3)
	ds_swizzle_b32 v3, v3 offset:swizzle(SWAP,2)
	s_waitcnt lgkmcnt(1)
	scratch_store_short v9, v5, off
	scratch_load_ushort v5, v7, off
	v_or_b32_e32 v9, 0, v11
	v_cndmask_b32_e64 v11, 42, 58, s[0:1]
	s_waitcnt lgkmcnt(0)
	scratch_store_short v10, v3, off
	scratch_load_ushort v3, v9, off
	s_nop 0
	scratch_load_ushort v10, v1, off
	s_waitcnt vmcnt(7)
	ds_swizzle_b32 v4, v4 offset:swizzle(SWAP,1)
	s_waitcnt vmcnt(5)
	ds_swizzle_b32 v2, v2 offset:swizzle(SWAP,8)
	s_waitcnt lgkmcnt(0)
	scratch_store_short v8, v2, off
	scratch_load_ushort v2, v11, off
	s_waitcnt vmcnt(5)
	ds_swizzle_b32 v5, v5 offset:swizzle(SWAP,4)
	v_cndmask_b32_e64 v8, 22, 30, vcc
	s_waitcnt vmcnt(3)
	ds_swizzle_b32 v3, v3 offset:swizzle(SWAP,2)
	s_waitcnt lgkmcnt(1)
	scratch_store_short v7, v5, off
	scratch_load_ushort v5, v8, off
	s_nop 0
	scratch_load_ushort v7, v12, off
	s_waitcnt vmcnt(3)
	ds_swizzle_b32 v2, v2 offset:swizzle(SWAP,8)
	s_waitcnt lgkmcnt(1)
	scratch_store_short v9, v3, off
	v_cndmask_b32_e64 v9, 44, 60, s[0:1]
	scratch_load_ushort v3, v13, off
	s_waitcnt vmcnt(3)
	ds_swizzle_b32 v5, v5 offset:swizzle(SWAP,4)
	s_waitcnt lgkmcnt(1)
	scratch_store_short v11, v2, off
	scratch_load_ushort v2, v9, off
	v_cndmask_b32_e64 v11, 32, 40, vcc
	scratch_load_ushort v14, v11, off
	s_waitcnt vmcnt(5)
	ds_swizzle_b32 v7, v7 offset:swizzle(SWAP,2)
	s_waitcnt lgkmcnt(1)
	scratch_store_short v8, v5, off
	s_waitcnt lgkmcnt(0)
	scratch_store_short v12, v7, off
	scratch_load_ushort v5, v15, off
	v_or_b32_e32 v7, 0, v16
	v_cndmask_b32_e64 v12, 46, 62, s[0:1]
	scratch_load_ushort v8, v7, off
	v_cndmask_b32_e64 v16, 16, 18, s[4:5]
	s_waitcnt vmcnt(7)
	ds_swizzle_b32 v3, v3 offset:swizzle(SWAP,1)
	s_waitcnt vmcnt(5)
	ds_swizzle_b32 v2, v2 offset:swizzle(SWAP,8)
	s_waitcnt lgkmcnt(0)
	scratch_store_short v9, v2, off
	scratch_load_ushort v2, v12, off
	s_waitcnt vmcnt(6)
	ds_swizzle_b32 v9, v14 offset:swizzle(SWAP,4)
	v_cndmask_b32_e64 v14, 34, 42, vcc
	s_waitcnt lgkmcnt(0)
	scratch_store_short v11, v9, off
	scratch_load_ushort v9, v14, off
	s_waitcnt vmcnt(5)
	ds_swizzle_b32 v5, v5 offset:swizzle(SWAP,2)
	v_cndmask_b32_e64 v11, 24, 28, s[2:3]
	s_waitcnt lgkmcnt(0)
	scratch_store_short v15, v5, off
	scratch_load_ushort v5, v11, off
	s_nop 0
	scratch_load_ushort v15, v16, off
	s_waitcnt vmcnt(5)
	ds_swizzle_b32 v2, v2 offset:swizzle(SWAP,8)
	s_waitcnt lgkmcnt(0)
	scratch_store_short v12, v2, off
	scratch_load_ushort v2, v17, off
	s_waitcnt vmcnt(5)
	ds_swizzle_b32 v9, v9 offset:swizzle(SWAP,4)
	v_cndmask_b32_e64 v12, 36, 44, vcc
	s_waitcnt lgkmcnt(0)
	scratch_store_short v14, v9, off
	scratch_load_ushort v9, v12, off
	s_waitcnt vmcnt(5)
	ds_swizzle_b32 v5, v5 offset:swizzle(SWAP,2)
	v_cndmask_b32_e64 v14, 26, 30, s[2:3]
	s_waitcnt vmcnt(4)
	ds_swizzle_b32 v15, v15 offset:swizzle(SWAP,1)
	s_waitcnt lgkmcnt(1)
	scratch_store_short v11, v5, off
	scratch_load_ushort v5, v14, off
	s_nop 0
	scratch_load_ushort v11, v22, off
	s_waitcnt vmcnt(5)
	ds_swizzle_b32 v2, v2 offset:swizzle(SWAP,4)
	scratch_store_short v6, v4, off
	ds_swizzle_b32 v4, v10 offset:swizzle(SWAP,1)
	ds_swizzle_b32 v6, v8 offset:swizzle(SWAP,1)
	v_cndmask_b32_e64 v10, 32, 34, s[4:5]
	s_waitcnt lgkmcnt(2)
	scratch_store_short v17, v2, off
	scratch_load_ushort v2, v18, off
	s_waitcnt vmcnt(6)
	ds_swizzle_b32 v9, v9 offset:swizzle(SWAP,4)
	v_cndmask_b32_e64 v17, 38, 46, vcc
	s_waitcnt lgkmcnt(0)
	scratch_store_short v12, v9, off
	s_waitcnt vmcnt(5)
	ds_swizzle_b32 v5, v5 offset:swizzle(SWAP,2)
	v_cndmask_b32_e64 v12, 32, 36, s[2:3]
	scratch_load_ushort v19, v12, off
	s_waitcnt vmcnt(5)
	ds_swizzle_b32 v11, v11 offset:swizzle(SWAP,1)
	s_waitcnt lgkmcnt(1)
	scratch_store_short v14, v5, off
	scratch_load_ushort v5, v23, off
	s_nop 0
	scratch_load_ushort v9, v17, off
	v_cndmask_b32_e64 v14, 52, 60, vcc
	s_waitcnt vmcnt(5)
	ds_swizzle_b32 v2, v2 offset:swizzle(SWAP,4)
	s_waitcnt lgkmcnt(0)
	scratch_store_short v18, v2, off
	scratch_load_ushort v2, v14, off
	s_waitcnt vmcnt(3)
	ds_swizzle_b32 v5, v5 offset:swizzle(SWAP,1)
	s_waitcnt vmcnt(2)
	ds_swizzle_b32 v8, v9 offset:swizzle(SWAP,4)
	ds_swizzle_b32 v9, v19 offset:swizzle(SWAP,2)
	scratch_store_short v1, v4, off
	scratch_store_short v13, v3, off
	;; [unrolled: 1-line block ×3, first 2 shown]
	s_waitcnt lgkmcnt(1)
	scratch_store_short v17, v8, off
	s_waitcnt lgkmcnt(0)
	scratch_store_short v12, v9, off
	scratch_load_ushort v1, v24, off
	scratch_load_ushort v3, v25, off
	scratch_load_dwordx4 v[18:21], off, off
	v_cndmask_b32_e64 v4, 54, 62, vcc
	v_cndmask_b32_e64 v6, 40, 44, s[2:3]
	v_cndmask_b32_e64 v7, 48, 52, s[2:3]
	;; [unrolled: 1-line block ×5, first 2 shown]
	s_waitcnt vmcnt(8)
	ds_swizzle_b32 v2, v2 offset:swizzle(SWAP,4)
	s_waitcnt lgkmcnt(0)
	scratch_store_short v14, v2, off
	scratch_load_ushort v2, v4, off
	s_nop 0
	scratch_load_ushort v8, v6, off
	scratch_load_ushort v9, v7, off
	v_cndmask_b32_e64 v14, 58, 62, s[2:3]
	s_waitcnt vmcnt(6)
	ds_swizzle_b32 v1, v1 offset:swizzle(SWAP,2)
	s_waitcnt vmcnt(5)
	ds_swizzle_b32 v3, v3 offset:swizzle(SWAP,1)
	s_waitcnt lgkmcnt(1)
	scratch_store_short v24, v1, off
	scratch_load_ushort v1, v10, off
	s_waitcnt vmcnt(4)
	ds_swizzle_b32 v2, v2 offset:swizzle(SWAP,4)
	s_waitcnt lgkmcnt(0)
	scratch_store_short v4, v2, off
	scratch_load_ushort v2, v12, off
	s_waitcnt vmcnt(5)
	ds_swizzle_b32 v4, v8 offset:swizzle(SWAP,2)
	s_waitcnt vmcnt(4)
	ds_swizzle_b32 v8, v9 offset:swizzle(SWAP,2)
	v_cndmask_b32_e64 v9, 42, 46, s[2:3]
	s_waitcnt lgkmcnt(1)
	scratch_store_short v6, v4, off
	s_waitcnt lgkmcnt(0)
	scratch_store_short v7, v8, off
	scratch_load_ushort v4, v9, off
	scratch_load_ushort v6, v13, off
	v_cndmask_b32_e64 v7, 36, 38, s[4:5]
	scratch_load_ushort v8, v7, off
	s_waitcnt vmcnt(7)
	ds_swizzle_b32 v1, v1 offset:swizzle(SWAP,1)
	s_waitcnt vmcnt(5)
	ds_swizzle_b32 v2, v2 offset:swizzle(SWAP,2)
	s_waitcnt lgkmcnt(0)
	scratch_store_short v12, v2, off
	scratch_load_ushort v2, v14, off
	s_waitcnt vmcnt(4)
	ds_swizzle_b32 v4, v4 offset:swizzle(SWAP,2)
	s_waitcnt vmcnt(3)
	ds_swizzle_b32 v6, v6 offset:swizzle(SWAP,2)
	v_cndmask_b32_e64 v12, 40, 42, s[4:5]
	s_waitcnt lgkmcnt(1)
	scratch_store_short v9, v4, off
	s_waitcnt lgkmcnt(0)
	scratch_store_short v13, v6, off
	scratch_load_ushort v4, v12, off
	s_nop 0
	scratch_load_ushort v6, v17, off
	scratch_load_ushort v9, v26, off
	;; [unrolled: 1-line block ×3, first 2 shown]
	s_waitcnt vmcnt(8)
	ds_swizzle_b32 v8, v8 offset:swizzle(SWAP,1)
	s_waitcnt vmcnt(6)
	ds_swizzle_b32 v2, v2 offset:swizzle(SWAP,2)
	s_waitcnt lgkmcnt(0)
	scratch_store_short v14, v2, off
	scratch_load_ushort v2, v28, off
	s_nop 0
	scratch_load_ushort v14, v29, off
	s_nop 0
	scratch_store_short v16, v15, off
	scratch_store_short v22, v11, off
	scratch_store_short v23, v5, off
	scratch_store_short v25, v3, off
	scratch_store_short v10, v1, off
	s_waitcnt vmcnt(11)
	ds_swizzle_b32 v1, v4 offset:swizzle(SWAP,1)
	s_waitcnt vmcnt(10)
	ds_swizzle_b32 v3, v6 offset:swizzle(SWAP,1)
	;; [unrolled: 2-line block ×4, first 2 shown]
	scratch_store_short v7, v8, off
	s_waitcnt lgkmcnt(3)
	scratch_store_short v12, v1, off
	scratch_load_dwordx4 v[22:25], off, off offset:16
	s_waitcnt vmcnt(9)
	ds_swizzle_b32 v1, v2 offset:swizzle(SWAP,1)
	s_waitcnt vmcnt(8)
	ds_swizzle_b32 v2, v14 offset:swizzle(SWAP,1)
	s_waitcnt lgkmcnt(4)
	scratch_store_short v17, v3, off
	s_waitcnt lgkmcnt(3)
	scratch_store_short v26, v4, off
	;; [unrolled: 2-line block ×5, first 2 shown]
	scratch_load_dwordx4 v[26:29], off, off offset:32
	s_nop 0
	scratch_load_dwordx4 v[30:33], off, off offset:48
.LBB38_4:
	v_lshlrev_b32_e32 v0, 1, v0
	global_store_dwordx4 v0, v[18:21], s[6:7]
	s_waitcnt vmcnt(8)
	global_store_dwordx4 v0, v[22:25], s[6:7] offset:16
	s_waitcnt vmcnt(3)
	global_store_dwordx4 v0, v[26:29], s[6:7] offset:32
	;; [unrolled: 2-line block ×3, first 2 shown]
	s_endpgm
	.section	.rodata,"a",@progbits
	.p2align	6, 0x0
	.amdhsa_kernel _Z20warp_exchange_kernelILj32ELj32EN6common25BlockedToStripedShuffleOpEsEvPT2_S3_b
		.amdhsa_group_segment_fixed_size 0
		.amdhsa_private_segment_fixed_size 80
		.amdhsa_kernarg_size 20
		.amdhsa_user_sgpr_count 2
		.amdhsa_user_sgpr_dispatch_ptr 0
		.amdhsa_user_sgpr_queue_ptr 0
		.amdhsa_user_sgpr_kernarg_segment_ptr 1
		.amdhsa_user_sgpr_dispatch_id 0
		.amdhsa_user_sgpr_kernarg_preload_length 0
		.amdhsa_user_sgpr_kernarg_preload_offset 0
		.amdhsa_user_sgpr_private_segment_size 0
		.amdhsa_uses_dynamic_stack 0
		.amdhsa_enable_private_segment 1
		.amdhsa_system_sgpr_workgroup_id_x 1
		.amdhsa_system_sgpr_workgroup_id_y 0
		.amdhsa_system_sgpr_workgroup_id_z 0
		.amdhsa_system_sgpr_workgroup_info 0
		.amdhsa_system_vgpr_workitem_id 0
		.amdhsa_next_free_vgpr 47
		.amdhsa_next_free_sgpr 8
		.amdhsa_accum_offset 48
		.amdhsa_reserve_vcc 1
		.amdhsa_float_round_mode_32 0
		.amdhsa_float_round_mode_16_64 0
		.amdhsa_float_denorm_mode_32 3
		.amdhsa_float_denorm_mode_16_64 3
		.amdhsa_dx10_clamp 1
		.amdhsa_ieee_mode 1
		.amdhsa_fp16_overflow 0
		.amdhsa_tg_split 0
		.amdhsa_exception_fp_ieee_invalid_op 0
		.amdhsa_exception_fp_denorm_src 0
		.amdhsa_exception_fp_ieee_div_zero 0
		.amdhsa_exception_fp_ieee_overflow 0
		.amdhsa_exception_fp_ieee_underflow 0
		.amdhsa_exception_fp_ieee_inexact 0
		.amdhsa_exception_int_div_zero 0
	.end_amdhsa_kernel
	.section	.text._Z20warp_exchange_kernelILj32ELj32EN6common25BlockedToStripedShuffleOpEsEvPT2_S3_b,"axG",@progbits,_Z20warp_exchange_kernelILj32ELj32EN6common25BlockedToStripedShuffleOpEsEvPT2_S3_b,comdat
.Lfunc_end38:
	.size	_Z20warp_exchange_kernelILj32ELj32EN6common25BlockedToStripedShuffleOpEsEvPT2_S3_b, .Lfunc_end38-_Z20warp_exchange_kernelILj32ELj32EN6common25BlockedToStripedShuffleOpEsEvPT2_S3_b
                                        ; -- End function
	.section	.AMDGPU.csdata,"",@progbits
; Kernel info:
; codeLenInByte = 6872
; NumSgprs: 14
; NumVgprs: 47
; NumAgprs: 0
; TotalNumVgprs: 47
; ScratchSize: 80
; MemoryBound: 0
; FloatMode: 240
; IeeeMode: 1
; LDSByteSize: 0 bytes/workgroup (compile time only)
; SGPRBlocks: 1
; VGPRBlocks: 5
; NumSGPRsForWavesPerEU: 14
; NumVGPRsForWavesPerEU: 47
; AccumOffset: 48
; Occupancy: 8
; WaveLimiterHint : 0
; COMPUTE_PGM_RSRC2:SCRATCH_EN: 1
; COMPUTE_PGM_RSRC2:USER_SGPR: 2
; COMPUTE_PGM_RSRC2:TRAP_HANDLER: 0
; COMPUTE_PGM_RSRC2:TGID_X_EN: 1
; COMPUTE_PGM_RSRC2:TGID_Y_EN: 0
; COMPUTE_PGM_RSRC2:TGID_Z_EN: 0
; COMPUTE_PGM_RSRC2:TIDIG_COMP_CNT: 0
; COMPUTE_PGM_RSRC3_GFX90A:ACCUM_OFFSET: 11
; COMPUTE_PGM_RSRC3_GFX90A:TG_SPLIT: 0
	.section	.text._Z20warp_exchange_kernelILj16ELj16EN6common25BlockedToStripedShuffleOpEaEvPT2_S3_b,"axG",@progbits,_Z20warp_exchange_kernelILj16ELj16EN6common25BlockedToStripedShuffleOpEaEvPT2_S3_b,comdat
	.protected	_Z20warp_exchange_kernelILj16ELj16EN6common25BlockedToStripedShuffleOpEaEvPT2_S3_b ; -- Begin function _Z20warp_exchange_kernelILj16ELj16EN6common25BlockedToStripedShuffleOpEaEvPT2_S3_b
	.globl	_Z20warp_exchange_kernelILj16ELj16EN6common25BlockedToStripedShuffleOpEaEvPT2_S3_b
	.p2align	8
	.type	_Z20warp_exchange_kernelILj16ELj16EN6common25BlockedToStripedShuffleOpEaEvPT2_S3_b,@function
_Z20warp_exchange_kernelILj16ELj16EN6common25BlockedToStripedShuffleOpEaEvPT2_S3_b: ; @_Z20warp_exchange_kernelILj16ELj16EN6common25BlockedToStripedShuffleOpEaEvPT2_S3_b
; %bb.0:
	s_load_dwordx4 s[4:7], s[0:1], 0x0
	s_load_dword s8, s[0:1], 0x10
                                        ; implicit-def: $vgpr43 : SGPR spill to VGPR lane
	v_mbcnt_lo_u32_b32 v4, -1, 0
	v_mbcnt_hi_u32_b32 v10, -1, v4
	v_and_b32_e32 v4, 8, v10
	s_waitcnt lgkmcnt(0)
	s_mov_b64 s[2:3], s[6:7]
	v_writelane_b32 v43, s0, 0
	v_xor_b32_e32 v7, 8, v4
	v_cmp_eq_u32_e32 vcc, 0, v4
	v_writelane_b32 v43, s1, 1
	v_writelane_b32 v43, s2, 2
	;; [unrolled: 1-line block ×3, first 2 shown]
	v_cmp_eq_u32_e64 s[0:1], 0, v7
	v_cndmask_b32_e64 v15, 1, 9, vcc
	v_lshlrev_b32_e32 v8, 4, v0
	v_writelane_b32 v43, s0, 4
	global_load_dwordx4 v[0:3], v8, s[4:5]
	v_cndmask_b32_e64 v6, 2, 10, vcc
	v_writelane_b32 v43, s1, 5
	v_cmp_eq_u32_e64 s[0:1], 1, v15
	v_cndmask_b32_e64 v5, 3, 11, vcc
	v_cndmask_b32_e64 v4, 4, 12, vcc
	v_writelane_b32 v43, s0, 6
                                        ; implicit-def: $vgpr42 : SGPR spill to VGPR lane
	v_cmp_eq_u32_e64 s[16:17], 15, v15
	v_cmp_eq_u32_e64 s[20:21], 4, v4
	v_writelane_b32 v43, s1, 7
	v_cmp_eq_u32_e64 s[0:1], 2, v15
	v_cmp_eq_u32_e64 s[24:25], 10, v6
	v_cmp_eq_u32_e64 s[26:27], 5, v4
	v_writelane_b32 v43, s0, 8
	v_cmp_eq_u32_e64 s[28:29], 11, v6
	v_cmp_eq_u32_e64 s[30:31], 6, v4
	v_writelane_b32 v43, s1, 9
	v_cmp_eq_u32_e64 s[0:1], 3, v15
	v_cmp_eq_u32_e64 s[34:35], 12, v6
	v_cmp_eq_u32_e64 s[36:37], 7, v4
	v_writelane_b32 v43, s0, 10
	;; [unrolled: 7-line block ×3, first 2 shown]
	v_cmp_eq_u32_e64 s[74:75], 0, v6
	v_cmp_eq_u32_e64 s[48:49], 2, v5
	v_writelane_b32 v43, s1, 13
	v_cmp_eq_u32_e64 s[0:1], 5, v15
                                        ; implicit-def: $vgpr41 : SGPR spill to VGPR lane
	v_cmp_eq_u32_e64 s[70:71], 13, v6
	v_writelane_b32 v41, s74, 0
	v_writelane_b32 v43, s0, 14
	v_cmp_eq_u32_e64 s[50:51], 11, v4
	v_writelane_b32 v41, s75, 1
	v_writelane_b32 v43, s1, 15
	v_cmp_eq_u32_e64 s[0:1], 6, v15
	v_writelane_b32 v41, s70, 2
	v_cmp_eq_u32_e64 s[68:69], 14, v6
	;; [unrolled: 2-line block ×3, first 2 shown]
	v_writelane_b32 v41, s71, 3
	v_writelane_b32 v43, s1, 17
	v_cmp_eq_u32_e64 s[0:1], 7, v15
	v_writelane_b32 v41, s68, 4
	v_cmp_eq_u32_e64 s[62:63], 15, v6
	;; [unrolled: 2-line block ×3, first 2 shown]
	v_writelane_b32 v41, s69, 5
	v_writelane_b32 v43, s1, 19
	v_cmp_eq_u32_e64 s[0:1], 8, v15
	v_writelane_b32 v41, s62, 6
	v_cndmask_b32_e64 v14, 5, 13, vcc
	v_writelane_b32 v43, s0, 20
	v_cndmask_b32_e64 v13, 6, 14, vcc
	v_cndmask_b32_e64 v12, 7, 15, vcc
	v_writelane_b32 v43, s1, 21
	v_cmp_eq_u32_e64 s[0:1], 9, v15
	v_cmp_eq_u32_e32 vcc, 1, v7
	v_cmp_eq_u32_e64 s[56:57], 4, v5
	v_writelane_b32 v43, s0, 22
	v_writelane_b32 v41, s63, 7
	v_cmp_eq_u32_e64 s[92:93], 2, v7
	v_writelane_b32 v43, s1, 23
	v_cmp_eq_u32_e64 s[0:1], 10, v15
	v_cmp_eq_u32_e64 s[58:59], 13, v4
	;; [unrolled: 1-line block ×3, first 2 shown]
	v_writelane_b32 v43, s0, 24
	v_cmp_eq_u32_e64 s[94:95], 4, v7
	v_cmp_eq_u32_e64 s[60:61], 5, v5
	v_writelane_b32 v43, s1, 25
	v_cmp_eq_u32_e64 s[0:1], 11, v15
	v_cmp_eq_u32_e64 s[66:67], 14, v4
	;; [unrolled: 1-line block ×3, first 2 shown]
	v_writelane_b32 v43, s0, 26
	v_cmp_eq_u32_e64 s[78:79], 6, v7
	v_cmp_eq_u32_e64 s[64:65], 6, v5
	v_writelane_b32 v43, s1, 27
	v_cmp_eq_u32_e64 s[0:1], 12, v15
	s_waitcnt vmcnt(0)
	v_lshrrev_b32_e32 v16, 16, v0
	v_lshrrev_b32_e32 v25, 24, v0
	v_writelane_b32 v43, s0, 28
	v_lshrrev_b32_e32 v17, 8, v1
	v_lshrrev_b32_e32 v18, 16, v1
	v_writelane_b32 v43, s1, 29
	v_cmp_eq_u32_e64 s[0:1], 13, v15
	v_and_b32_e32 v11, 4, v10
	v_lshrrev_b32_e32 v19, 24, v1
	v_writelane_b32 v43, s0, 30
	v_cmp_eq_u32_e64 s[22:23], 7, v7
	v_cmp_eq_u32_e64 s[2:3], 8, v7
	v_writelane_b32 v43, s1, 31
	v_cmp_eq_u32_e64 s[0:1], 14, v15
	v_cmp_eq_u32_e64 s[90:91], 15, v4
	v_lshrrev_b32_e32 v20, 8, v2
	v_writelane_b32 v43, s0, 32
	v_cmp_eq_u32_e64 s[4:5], 9, v7
	s_bitcmp0_b32 s8, 0
	v_writelane_b32 v43, s1, 33
	v_cmp_eq_u32_e64 s[0:1], 0, v15
	v_lshrrev_b32_e32 v15, 8, v0
	v_cndmask_b32_e32 v27, v0, v15, vcc
	v_writelane_b32 v43, s0, 34
	v_writelane_b32 v41, vcc_lo, 8
	v_cndmask_b32_e64 v27, v27, v16, s[92:93]
	v_writelane_b32 v43, s1, 35
	v_cmp_eq_u32_e64 s[0:1], 1, v6
	v_writelane_b32 v41, vcc_hi, 9
	v_writelane_b32 v41, s92, 10
	v_writelane_b32 v43, s0, 36
	v_cndmask_b32_e64 v25, v27, v25, s[96:97]
	v_writelane_b32 v41, s93, 11
	v_writelane_b32 v43, s1, 37
	v_cmp_eq_u32_e64 s[0:1], 2, v6
	v_cndmask_b32_e64 v25, v25, v1, s[94:95]
	v_writelane_b32 v41, s94, 12
	v_writelane_b32 v43, s0, 38
	v_cndmask_b32_e64 v25, v25, v17, s[98:99]
	v_writelane_b32 v41, s95, 13
	v_writelane_b32 v43, s1, 39
	v_cmp_eq_u32_e64 s[0:1], 3, v6
	v_writelane_b32 v41, s96, 14
	v_cndmask_b32_e64 v25, v25, v18, s[78:79]
	v_writelane_b32 v43, s0, 40
	v_writelane_b32 v41, s97, 15
	;; [unrolled: 1-line block ×4, first 2 shown]
	v_cmp_eq_u32_e64 s[0:1], 4, v6
	v_cndmask_b32_e64 v25, v25, v19, s[22:23]
	v_writelane_b32 v41, s99, 17
	v_writelane_b32 v43, s0, 42
	v_cndmask_b32_e64 v25, v25, v2, s[2:3]
	v_writelane_b32 v41, s2, 18
	v_writelane_b32 v43, s1, 43
	v_cmp_eq_u32_e64 s[0:1], 5, v6
	v_writelane_b32 v41, s3, 19
	v_writelane_b32 v41, s78, 20
	;; [unrolled: 1-line block ×3, first 2 shown]
	v_lshrrev_b32_e32 v21, 16, v2
	v_cndmask_b32_e64 v25, v25, v20, s[4:5]
	v_writelane_b32 v43, s1, 45
	v_cmp_eq_u32_e64 s[0:1], 6, v6
	v_cmp_eq_u32_e64 s[8:9], 10, v7
	v_cmp_eq_u32_e64 s[82:83], 7, v5
	v_writelane_b32 v43, s0, 46
	v_writelane_b32 v41, s79, 21
	v_lshrrev_b32_e32 v26, 24, v2
	v_writelane_b32 v43, s1, 47
	v_cmp_eq_u32_e64 s[0:1], 7, v6
	v_cndmask_b32_e64 v25, v25, v21, s[8:9]
	v_cmp_eq_u32_e64 s[10:11], 11, v7
	v_writelane_b32 v43, s0, 48
	v_writelane_b32 v41, s22, 22
	v_cndmask_b32_e64 v25, v25, v26, s[10:11]
	v_writelane_b32 v43, s1, 49
	v_cmp_eq_u32_e64 s[0:1], 8, v6
	v_cmp_eq_u32_e64 s[6:7], 12, v7
	;; [unrolled: 1-line block ×3, first 2 shown]
	v_writelane_b32 v43, s0, 50
	v_writelane_b32 v41, s23, 23
	v_cndmask_b32_e64 v25, v25, v3, s[6:7]
	v_writelane_b32 v43, s1, 51
	v_cmp_eq_u32_e64 s[0:1], 9, v6
	v_writelane_b32 v41, s6, 24
	v_cmp_eq_u32_e64 s[88:89], 10, v5
	v_writelane_b32 v43, s0, 52
	v_writelane_b32 v41, s7, 25
	;; [unrolled: 1-line block ×4, first 2 shown]
	v_cmp_eq_u32_e64 s[0:1], 8, v5
	v_cmp_eq_u32_e64 s[86:87], 11, v5
	v_writelane_b32 v41, s5, 27
	v_writelane_b32 v43, s0, 54
	;; [unrolled: 1-line block ×3, first 2 shown]
	v_cmp_eq_u32_e64 s[84:85], 12, v5
	v_writelane_b32 v43, s1, 55
	v_cmp_eq_u32_e64 s[0:1], 0, v5
	v_writelane_b32 v41, s9, 29
	v_writelane_b32 v41, s10, 30
	;; [unrolled: 1-line block ×3, first 2 shown]
	v_lshrrev_b32_e32 v22, 8, v3
	v_cmp_eq_u32_e64 s[14:15], 13, v7
	v_writelane_b32 v43, s1, 57
	v_cmp_eq_u32_e64 s[0:1], 1, v4
	v_cmp_eq_u32_e64 s[80:81], 13, v5
	v_writelane_b32 v41, s11, 31
	v_writelane_b32 v43, s0, 58
	v_cndmask_b32_e64 v25, v25, v22, s[14:15]
	v_writelane_b32 v41, s14, 32
	v_writelane_b32 v43, s1, 59
	v_cmp_eq_u32_e64 s[0:1], 2, v4
	v_lshrrev_b32_e32 v23, 16, v3
	v_cmp_eq_u32_e64 s[12:13], 14, v7
	v_writelane_b32 v43, s0, 60
	v_cmp_eq_u32_e64 s[40:41], 14, v5
	v_writelane_b32 v41, s15, 33
	v_writelane_b32 v43, s1, 61
	v_cmp_eq_u32_e64 s[0:1], 3, v4
	v_lshrrev_b32_e32 v24, 24, v3
	v_cndmask_b32_e64 v25, v25, v23, s[12:13]
	v_writelane_b32 v43, s0, 62
	v_cmp_eq_u32_e64 s[18:19], 15, v7
	v_writelane_b32 v41, s12, 34
	v_writelane_b32 v43, s1, 63
	v_cmp_eq_u32_e64 s[0:1], 0, v4
	v_cndmask_b32_e64 v7, v25, v24, s[18:19]
	v_cmp_eq_u32_e64 s[76:77], 15, v5
	v_writelane_b32 v42, s0, 0
	v_writelane_b32 v41, s13, 35
	v_mov_b32_e32 v9, 0
	v_writelane_b32 v42, s1, 1
	v_writelane_b32 v42, s16, 2
	v_cmp_ne_u32_e64 s[0:1], 0, v11
	v_and_b32_e32 v25, 0xff, v7
	v_writelane_b32 v42, s17, 3
	v_writelane_b32 v42, s20, 4
	;; [unrolled: 1-line block ×3, first 2 shown]
	s_nop 0
	v_writelane_b32 v42, s21, 5
	v_writelane_b32 v42, s24, 6
	;; [unrolled: 1-line block ×3, first 2 shown]
	s_nop 0
	v_writelane_b32 v42, s25, 7
	v_writelane_b32 v42, s26, 8
	s_nop 1
	v_writelane_b32 v42, s27, 9
	v_writelane_b32 v42, s28, 10
	;; [unrolled: 3-line block ×28, first 2 shown]
	s_nop 1
	v_writelane_b32 v42, s77, 63
	s_cbranch_scc0 .LBB39_2
; %bb.1:
	ds_swizzle_b32 v6, v25 offset:swizzle(SWAP,8)
	v_lshrrev_b64 v[4:5], 24, v[2:3]
	s_waitcnt lgkmcnt(0)
	v_cndmask_b32_e64 v35, v3, v6, s[6:7]
	s_mov_b64 s[6:7], s[0:1]
	s_mov_b64 s[0:1], s[80:81]
	v_readlane_b32 s80, v43, 4
	v_cndmask_b32_e64 v28, v4, v6, s[10:11]
	v_lshrrev_b64 v[4:5], 24, v[0:1]
	v_readlane_b32 s81, v43, 5
	v_cndmask_b32_e64 v7, v24, v6, s[18:19]
	v_cndmask_b32_e64 v26, v23, v6, s[12:13]
	;; [unrolled: 1-line block ×10, first 2 shown]
	v_cndmask_b32_e32 v34, v15, v6, vcc
	v_cndmask_b32_e64 v36, v2, v6, s[2:3]
	v_cndmask_b32_e64 v37, v1, v6, s[94:95]
	;; [unrolled: 1-line block ×3, first 2 shown]
	v_readlane_b32 s80, v43, 6
	v_readlane_b32 s81, v43, 7
	;; [unrolled: 1-line block ×4, first 2 shown]
	v_cndmask_b32_e64 v38, v6, v34, s[80:81]
	v_readlane_b32 s22, v43, 10
	v_cndmask_b32_e64 v38, v38, v5, s[18:19]
	v_readlane_b32 s23, v43, 11
	v_readlane_b32 s78, v43, 12
	v_readlane_b32 s79, v43, 13
	v_cndmask_b32_e64 v38, v38, v4, s[22:23]
	v_readlane_b32 s92, v43, 14
	v_cndmask_b32_e64 v38, v38, v37, s[78:79]
	v_readlane_b32 s93, v43, 15
	v_readlane_b32 s94, v43, 16
	v_readlane_b32 s95, v43, 17
	v_cndmask_b32_e64 v38, v38, v33, s[92:93]
	v_readlane_b32 s96, v43, 18
	v_cndmask_b32_e64 v38, v38, v32, s[94:95]
	v_readlane_b32 s97, v43, 19
	v_readlane_b32 s98, v43, 20
	v_readlane_b32 s99, v43, 21
	v_cndmask_b32_e64 v38, v38, v31, s[96:97]
	v_readlane_b32 s2, v43, 22
	v_cndmask_b32_e64 v38, v38, v36, s[98:99]
	v_readlane_b32 s3, v43, 23
	v_readlane_b32 s4, v43, 24
	v_readlane_b32 s5, v43, 25
	v_cndmask_b32_e64 v38, v38, v30, s[2:3]
	v_readlane_b32 s8, v43, 26
	v_cndmask_b32_e64 v38, v38, v29, s[4:5]
	v_readlane_b32 s9, v43, 27
	v_readlane_b32 s10, v43, 28
	v_readlane_b32 s11, v43, 29
	v_cndmask_b32_e64 v38, v38, v28, s[8:9]
	v_readlane_b32 s12, v43, 30
	v_cndmask_b32_e64 v38, v38, v35, s[10:11]
	v_readlane_b32 s13, v43, 31
	v_readlane_b32 s14, v43, 32
	v_readlane_b32 s15, v43, 33
	v_cndmask_b32_e64 v38, v38, v27, s[12:13]
	v_cmp_eq_u32_e32 vcc, 15, v14
	v_cndmask_b32_e64 v38, v38, v26, s[14:15]
	v_cndmask_b32_e64 v38, v38, v7, s[16:17]
	v_and_b32_e32 v38, 0xff, v38
	ds_swizzle_b32 v38, v38 offset:swizzle(SWAP,8)
	s_waitcnt lgkmcnt(0)
	v_cndmask_b32_e64 v30, v30, v38, s[2:3]
	v_readlane_b32 s2, v43, 34
	v_cndmask_b32_e64 v29, v29, v38, s[4:5]
	v_readlane_b32 s3, v43, 35
	v_readlane_b32 s4, v43, 36
	v_cndmask_b32_e64 v34, v34, v38, s[80:81]
	v_cndmask_b32_e64 v6, v6, v38, s[2:3]
	v_readlane_b32 s5, v43, 37
	v_readlane_b32 s2, v43, 38
	v_cndmask_b32_e64 v7, v7, v38, s[16:17]
	v_cndmask_b32_e64 v26, v26, v38, s[14:15]
	v_cndmask_b32_e64 v27, v27, v38, s[12:13]
	v_cndmask_b32_e64 v35, v35, v38, s[10:11]
	v_cndmask_b32_e64 v28, v28, v38, s[8:9]
	v_cndmask_b32_e64 v36, v36, v38, s[98:99]
	v_cndmask_b32_e64 v31, v31, v38, s[96:97]
	v_cndmask_b32_e64 v32, v32, v38, s[94:95]
	v_cndmask_b32_e64 v33, v33, v38, s[92:93]
	v_cndmask_b32_e64 v37, v37, v38, s[78:79]
	v_cndmask_b32_e64 v4, v4, v38, s[22:23]
	v_cndmask_b32_e64 v5, v5, v38, s[18:19]
	v_cndmask_b32_e64 v38, v6, v34, s[4:5]
	v_readlane_b32 s3, v43, 39
	v_readlane_b32 s8, v43, 40
	v_readlane_b32 s9, v43, 41
	v_cndmask_b32_e64 v38, v38, v5, s[2:3]
	v_readlane_b32 s10, v43, 42
	v_cndmask_b32_e64 v38, v38, v4, s[8:9]
	v_readlane_b32 s11, v43, 43
	v_readlane_b32 s12, v43, 44
	v_readlane_b32 s13, v43, 45
	v_cndmask_b32_e64 v38, v38, v37, s[10:11]
	v_readlane_b32 s14, v43, 46
	v_cndmask_b32_e64 v38, v38, v33, s[12:13]
	;; [unrolled: 6-line block ×3, first 2 shown]
	v_readlane_b32 s19, v43, 51
	v_readlane_b32 s22, v43, 52
	;; [unrolled: 1-line block ×3, first 2 shown]
	v_cndmask_b32_e64 v38, v38, v36, s[18:19]
	v_cmp_eq_u32_e64 s[80:81], 9, v14
	v_cndmask_b32_e64 v38, v38, v30, s[22:23]
	v_cndmask_b32_e64 v38, v38, v29, s[24:25]
	;; [unrolled: 1-line block ×7, first 2 shown]
	v_and_b32_e32 v38, 0xff, v38
	ds_swizzle_b32 v38, v38 offset:swizzle(SWAP,8)
	s_waitcnt lgkmcnt(0)
	v_cndmask_b32_e64 v34, v34, v38, s[4:5]
	v_cndmask_b32_e64 v6, v6, v38, s[74:75]
	;; [unrolled: 1-line block ×22, first 2 shown]
	v_readlane_b32 s2, v43, 54
	v_cndmask_b32_e64 v38, v38, v31, s[82:83]
	v_readlane_b32 s3, v43, 55
	v_readlane_b32 s4, v43, 62
	;; [unrolled: 1-line block ×3, first 2 shown]
	v_cndmask_b32_e64 v38, v38, v36, s[2:3]
	v_cndmask_b32_e64 v38, v38, v30, s[72:73]
	;; [unrolled: 1-line block ×8, first 2 shown]
	v_and_b32_e32 v38, 0xff, v38
	ds_swizzle_b32 v38, v38 offset:swizzle(SWAP,8)
	v_readlane_b32 s2, v43, 54
	v_readlane_b32 s3, v43, 55
	v_cmp_eq_u32_e64 s[62:63], 2, v14
	v_cmp_eq_u32_e64 s[68:69], 4, v14
	s_waitcnt lgkmcnt(0)
	v_cndmask_b32_e64 v36, v36, v38, s[2:3]
	v_readlane_b32 s2, v43, 56
	v_cndmask_b32_e64 v27, v27, v38, s[0:1]
	v_readlane_b32 s3, v43, 57
	v_readlane_b32 s0, v43, 58
	v_cndmask_b32_e64 v34, v34, v38, s[44:45]
	v_cndmask_b32_e64 v6, v6, v38, s[2:3]
	v_readlane_b32 s1, v43, 59
	v_readlane_b32 s2, v43, 60
	v_cndmask_b32_e64 v7, v7, v38, s[76:77]
	v_cndmask_b32_e64 v26, v26, v38, s[40:41]
	;; [unrolled: 1-line block ×13, first 2 shown]
	v_readlane_b32 s3, v43, 61
	v_cmp_eq_u32_e64 s[64:65], 1, v14
	v_cmp_eq_u32_e64 s[70:71], 5, v14
	v_cndmask_b32_e64 v38, v38, v5, s[2:3]
	v_cndmask_b32_e64 v38, v38, v4, s[4:5]
	;; [unrolled: 1-line block ×14, first 2 shown]
	v_and_b32_e32 v38, 0xff, v38
	ds_swizzle_b32 v38, v38 offset:swizzle(SWAP,8)
	v_cmp_eq_u32_e64 s[72:73], 6, v14
	v_cmp_eq_u32_e64 s[74:75], 7, v14
	;; [unrolled: 1-line block ×4, first 2 shown]
	s_waitcnt lgkmcnt(0)
	v_cndmask_b32_e64 v34, v34, v38, s[0:1]
	v_readlane_b32 s0, v42, 0
	v_readlane_b32 s1, v42, 1
	v_cndmask_b32_e64 v7, v7, v38, s[90:91]
	v_cndmask_b32_e64 v26, v26, v38, s[66:67]
	;; [unrolled: 1-line block ×17, first 2 shown]
	v_cmp_eq_u32_e64 s[66:67], 3, v14
	v_cmp_eq_u32_e64 s[84:85], 11, v14
	;; [unrolled: 1-line block ×3, first 2 shown]
	v_cndmask_b32_e64 v38, v38, v4, s[66:67]
	v_cndmask_b32_e64 v38, v38, v37, s[68:69]
	;; [unrolled: 1-line block ×10, first 2 shown]
	v_cmp_eq_u32_e64 s[88:89], 13, v14
	v_cmp_eq_u32_e64 s[90:91], 14, v14
	s_nop 0
	v_cndmask_b32_e64 v38, v38, v27, s[88:89]
	v_cndmask_b32_e64 v38, v38, v26, s[90:91]
	v_cndmask_b32_e32 v38, v38, v7, vcc
	v_and_b32_e32 v38, 0xff, v38
	ds_swizzle_b32 v38, v38 offset:swizzle(SWAP,8)
	s_waitcnt lgkmcnt(0)
	v_cndmask_b32_e32 v7, v7, v38, vcc
	v_cmp_eq_u32_e32 vcc, 0, v14
	v_cndmask_b32_e64 v34, v34, v38, s[64:65]
	v_cndmask_b32_e64 v26, v26, v38, s[90:91]
	v_cndmask_b32_e32 v6, v6, v38, vcc
	v_cmp_eq_u32_e32 vcc, 1, v13
	v_cndmask_b32_e64 v27, v27, v38, s[88:89]
	v_cndmask_b32_e64 v35, v35, v38, s[86:87]
	v_cndmask_b32_e64 v28, v28, v38, s[84:85]
	v_cndmask_b32_e64 v29, v29, v38, s[82:83]
	v_cndmask_b32_e64 v30, v30, v38, s[80:81]
	v_cndmask_b32_e64 v36, v36, v38, s[76:77]
	v_cndmask_b32_e64 v31, v31, v38, s[74:75]
	v_cndmask_b32_e64 v32, v32, v38, s[72:73]
	v_cndmask_b32_e64 v33, v33, v38, s[70:71]
	v_cndmask_b32_e64 v37, v37, v38, s[68:69]
	v_cndmask_b32_e64 v4, v4, v38, s[66:67]
	v_cndmask_b32_e64 v5, v5, v38, s[62:63]
	v_cndmask_b32_e32 v38, v6, v34, vcc
	v_cmp_eq_u32_e64 s[62:63], 2, v13
	v_cmp_eq_u32_e64 s[64:65], 3, v13
	v_cmp_eq_u32_e64 s[66:67], 4, v13
	v_cndmask_b32_e64 v38, v38, v5, s[62:63]
	v_cndmask_b32_e64 v38, v38, v4, s[64:65]
	v_cndmask_b32_e64 v38, v38, v37, s[66:67]
	v_cmp_eq_u32_e64 s[68:69], 5, v13
	v_cmp_eq_u32_e64 s[70:71], 6, v13
	v_cmp_eq_u32_e64 s[72:73], 7, v13
	v_cndmask_b32_e64 v38, v38, v33, s[68:69]
	v_cndmask_b32_e64 v38, v38, v32, s[70:71]
	v_cndmask_b32_e64 v38, v38, v31, s[72:73]
	;; [unrolled: 6-line block ×4, first 2 shown]
	v_cmp_eq_u32_e64 s[88:89], 14, v13
	v_cmp_eq_u32_e64 s[90:91], 15, v13
	s_nop 0
	v_cndmask_b32_e64 v38, v38, v26, s[88:89]
	v_cndmask_b32_e64 v38, v38, v7, s[90:91]
	v_and_b32_e32 v38, 0xff, v38
	ds_swizzle_b32 v38, v38 offset:swizzle(SWAP,8)
	s_waitcnt lgkmcnt(0)
	v_cndmask_b32_e32 v34, v34, v38, vcc
	v_cmp_eq_u32_e32 vcc, 0, v13
	v_cndmask_b32_e64 v7, v7, v38, s[90:91]
	v_cndmask_b32_e64 v26, v26, v38, s[88:89]
	v_cndmask_b32_e32 v6, v6, v38, vcc
	v_cmp_eq_u32_e32 vcc, 1, v12
	v_cndmask_b32_e64 v27, v27, v38, s[86:87]
	v_cndmask_b32_e64 v35, v35, v38, s[84:85]
	;; [unrolled: 1-line block ×12, first 2 shown]
	v_cndmask_b32_e32 v38, v6, v34, vcc
	v_cmp_eq_u32_e64 s[62:63], 2, v12
	v_cmp_eq_u32_e64 s[64:65], 3, v12
	v_cmp_eq_u32_e64 s[66:67], 4, v12
	v_cndmask_b32_e64 v38, v38, v5, s[62:63]
	v_cndmask_b32_e64 v38, v38, v4, s[64:65]
	v_cndmask_b32_e64 v38, v38, v37, s[66:67]
	v_cmp_eq_u32_e64 s[68:69], 5, v12
	v_cmp_eq_u32_e64 s[70:71], 6, v12
	v_cmp_eq_u32_e64 s[72:73], 7, v12
	v_cndmask_b32_e64 v38, v38, v33, s[68:69]
	v_cndmask_b32_e64 v38, v38, v32, s[70:71]
	v_cndmask_b32_e64 v38, v38, v31, s[72:73]
	;; [unrolled: 6-line block ×4, first 2 shown]
	v_cmp_eq_u32_e64 s[88:89], 14, v12
	v_cmp_eq_u32_e64 s[90:91], 15, v12
	s_nop 0
	v_cndmask_b32_e64 v38, v38, v26, s[88:89]
	v_cndmask_b32_e64 v38, v38, v7, s[90:91]
	v_and_b32_e32 v38, 0xff, v38
	ds_swizzle_b32 v38, v38 offset:swizzle(SWAP,8)
	s_waitcnt lgkmcnt(0)
	v_cndmask_b32_e32 v34, v34, v38, vcc
	v_cmp_eq_u32_e32 vcc, 0, v12
	v_cndmask_b32_e64 v7, v7, v38, s[90:91]
	v_cndmask_b32_e64 v26, v26, v38, s[88:89]
	;; [unrolled: 1-line block ×14, first 2 shown]
	v_cndmask_b32_e32 v6, v6, v38, vcc
	v_xor_b32_e32 v38, 4, v11
	v_cmp_eq_u32_e32 vcc, 1, v38
	v_cmp_eq_u32_e64 s[62:63], 2, v38
	v_cmp_eq_u32_e64 s[64:65], 3, v38
	v_cndmask_b32_e32 v39, v6, v34, vcc
	v_cndmask_b32_e64 v39, v39, v5, s[62:63]
	v_cndmask_b32_e64 v39, v39, v4, s[64:65]
	v_cmp_eq_u32_e64 s[66:67], 4, v38
	v_cmp_eq_u32_e64 s[68:69], 5, v38
	v_cmp_eq_u32_e64 s[70:71], 6, v38
	v_cndmask_b32_e64 v39, v39, v37, s[66:67]
	v_cndmask_b32_e64 v39, v39, v33, s[68:69]
	v_cndmask_b32_e64 v39, v39, v32, s[70:71]
	v_cmp_eq_u32_e64 s[72:73], 7, v38
	v_cmp_eq_u32_e64 s[74:75], 8, v38
	v_cmp_eq_u32_e64 s[76:77], 9, v38
	v_cndmask_b32_e64 v39, v39, v31, s[72:73]
	;; [unrolled: 6-line block ×4, first 2 shown]
	v_cndmask_b32_e64 v39, v39, v26, s[88:89]
	v_cndmask_b32_e64 v39, v39, v7, s[90:91]
	v_and_b32_e32 v39, 0xff, v39
	ds_swizzle_b32 v39, v39 offset:swizzle(SWAP,4)
	s_waitcnt lgkmcnt(0)
	v_cndmask_b32_e32 v34, v34, v39, vcc
	v_cmp_eq_u32_e32 vcc, 0, v38
	v_cndmask_b32_e64 v7, v7, v39, s[90:91]
	v_cndmask_b32_e64 v26, v26, v39, s[88:89]
	v_cndmask_b32_e32 v6, v6, v39, vcc
	v_cmp_eq_u32_e32 vcc, 0, v11
	v_cndmask_b32_e64 v27, v27, v39, s[86:87]
	v_cndmask_b32_e64 v35, v35, v39, s[84:85]
	;; [unrolled: 1-line block ×12, first 2 shown]
	v_cndmask_b32_e64 v39, 1, 5, vcc
	v_cndmask_b32_e64 v38, v6, v34, s[6:7]
	v_cmp_eq_u32_e64 s[62:63], 2, v39
	v_cmp_eq_u32_e64 s[64:65], 3, v39
	;; [unrolled: 1-line block ×3, first 2 shown]
	v_cndmask_b32_e64 v38, v38, v5, s[62:63]
	v_cndmask_b32_e64 v38, v38, v4, s[64:65]
	;; [unrolled: 1-line block ×3, first 2 shown]
	v_cndmask_b32_e32 v38, v38, v33, vcc
	v_cmp_eq_u32_e64 s[68:69], 6, v39
	v_cmp_eq_u32_e64 s[70:71], 7, v39
	v_cmp_eq_u32_e64 s[72:73], 8, v39
	v_cndmask_b32_e64 v38, v38, v32, s[68:69]
	v_cndmask_b32_e64 v38, v38, v31, s[70:71]
	v_cndmask_b32_e64 v38, v38, v36, s[72:73]
	v_cmp_eq_u32_e64 s[74:75], 9, v39
	v_cmp_eq_u32_e64 s[76:77], 10, v39
	v_cmp_eq_u32_e64 s[80:81], 11, v39
	v_cndmask_b32_e64 v38, v38, v30, s[74:75]
	v_cndmask_b32_e64 v38, v38, v29, s[76:77]
	v_cndmask_b32_e64 v38, v38, v28, s[80:81]
	;; [unrolled: 6-line block ×3, first 2 shown]
	v_cmp_eq_u32_e64 s[88:89], 15, v39
	s_nop 1
	v_cndmask_b32_e64 v38, v38, v7, s[88:89]
	v_and_b32_e32 v38, 0xff, v38
	ds_swizzle_b32 v38, v38 offset:swizzle(SWAP,4)
	s_waitcnt lgkmcnt(0)
	v_cndmask_b32_e64 v5, v5, v38, s[62:63]
	v_cmp_eq_u32_e64 s[62:63], 0, v39
	v_cndmask_b32_e64 v7, v7, v38, s[88:89]
	v_cndmask_b32_e64 v26, v26, v38, s[86:87]
	;; [unrolled: 1-line block ×13, first 2 shown]
	v_cndmask_b32_e32 v33, v33, v38, vcc
	v_cndmask_b32_e64 v34, v34, v38, s[6:7]
	v_cndmask_b32_e64 v38, 2, 6, vcc
	v_cmp_eq_u32_e64 s[62:63], 1, v38
	v_cmp_eq_u32_e64 s[64:65], 3, v38
	;; [unrolled: 1-line block ×3, first 2 shown]
	v_cndmask_b32_e64 v39, v6, v34, s[62:63]
	v_cndmask_b32_e64 v39, v39, v5, s[6:7]
	;; [unrolled: 1-line block ×4, first 2 shown]
	v_cmp_eq_u32_e64 s[68:69], 5, v38
	v_cmp_eq_u32_e64 s[70:71], 7, v38
	;; [unrolled: 1-line block ×3, first 2 shown]
	v_cndmask_b32_e64 v39, v39, v33, s[68:69]
	v_cndmask_b32_e32 v39, v39, v32, vcc
	v_cndmask_b32_e64 v39, v39, v31, s[70:71]
	v_cndmask_b32_e64 v39, v39, v36, s[72:73]
	v_cmp_eq_u32_e64 s[74:75], 9, v38
	v_cmp_eq_u32_e64 s[76:77], 10, v38
	;; [unrolled: 1-line block ×3, first 2 shown]
	v_cndmask_b32_e64 v39, v39, v30, s[74:75]
	v_cndmask_b32_e64 v39, v39, v29, s[76:77]
	;; [unrolled: 1-line block ×3, first 2 shown]
	v_cmp_eq_u32_e64 s[82:83], 12, v38
	v_cmp_eq_u32_e64 s[84:85], 13, v38
	;; [unrolled: 1-line block ×3, first 2 shown]
	v_cndmask_b32_e64 v39, v39, v35, s[82:83]
	v_cndmask_b32_e64 v39, v39, v27, s[84:85]
	v_cndmask_b32_e64 v39, v39, v26, s[86:87]
	v_cmp_eq_u32_e64 s[88:89], 15, v38
	s_nop 1
	v_cndmask_b32_e64 v39, v39, v7, s[88:89]
	v_and_b32_e32 v39, 0xff, v39
	ds_swizzle_b32 v39, v39 offset:swizzle(SWAP,4)
	s_waitcnt lgkmcnt(0)
	v_cndmask_b32_e64 v34, v34, v39, s[62:63]
	v_cmp_eq_u32_e64 s[62:63], 0, v38
	v_cndmask_b32_e64 v38, 3, 7, vcc
	v_cndmask_b32_e64 v7, v7, v39, s[88:89]
	v_cndmask_b32_e64 v6, v6, v39, s[62:63]
	v_cmp_eq_u32_e64 s[62:63], 1, v38
	v_cndmask_b32_e64 v26, v26, v39, s[86:87]
	v_cndmask_b32_e64 v27, v27, v39, s[84:85]
	v_cndmask_b32_e64 v35, v35, v39, s[82:83]
	v_cndmask_b32_e64 v28, v28, v39, s[80:81]
	v_cndmask_b32_e64 v29, v29, v39, s[76:77]
	v_cndmask_b32_e64 v30, v30, v39, s[74:75]
	v_cndmask_b32_e64 v36, v36, v39, s[72:73]
	v_cndmask_b32_e64 v31, v31, v39, s[70:71]
	v_cndmask_b32_e64 v33, v33, v39, s[68:69]
	v_cndmask_b32_e64 v37, v37, v39, s[66:67]
	v_cndmask_b32_e64 v4, v4, v39, s[64:65]
	v_cndmask_b32_e32 v32, v32, v39, vcc
	v_cndmask_b32_e64 v5, v5, v39, s[6:7]
	v_cndmask_b32_e64 v39, v6, v34, s[62:63]
	v_cmp_eq_u32_e64 s[64:65], 2, v38
	v_cmp_eq_u32_e64 s[66:67], 4, v38
	v_cmp_eq_u32_e64 s[68:69], 5, v38
	v_cndmask_b32_e64 v39, v39, v5, s[64:65]
	v_cndmask_b32_e64 v39, v39, v4, s[6:7]
	;; [unrolled: 1-line block ×4, first 2 shown]
	v_cmp_eq_u32_e64 s[70:71], 6, v38
	v_cmp_eq_u32_e64 s[72:73], 8, v38
	;; [unrolled: 1-line block ×3, first 2 shown]
	v_cndmask_b32_e64 v39, v39, v32, s[70:71]
	v_cndmask_b32_e32 v39, v39, v31, vcc
	v_cndmask_b32_e64 v39, v39, v36, s[72:73]
	v_cndmask_b32_e64 v39, v39, v30, s[74:75]
	v_cmp_eq_u32_e64 s[76:77], 10, v38
	v_cmp_eq_u32_e64 s[80:81], 11, v38
	;; [unrolled: 1-line block ×3, first 2 shown]
	v_cndmask_b32_e64 v39, v39, v29, s[76:77]
	v_cndmask_b32_e64 v39, v39, v28, s[80:81]
	;; [unrolled: 1-line block ×3, first 2 shown]
	v_cmp_eq_u32_e64 s[84:85], 13, v38
	v_cmp_eq_u32_e64 s[86:87], 14, v38
	;; [unrolled: 1-line block ×3, first 2 shown]
	v_cndmask_b32_e64 v39, v39, v27, s[84:85]
	v_cndmask_b32_e64 v39, v39, v26, s[86:87]
	;; [unrolled: 1-line block ×3, first 2 shown]
	v_and_b32_e32 v39, 0xff, v39
	ds_swizzle_b32 v39, v39 offset:swizzle(SWAP,4)
	s_waitcnt lgkmcnt(0)
	v_cndmask_b32_e64 v34, v34, v39, s[62:63]
	v_cmp_eq_u32_e64 s[62:63], 0, v38
	v_cndmask_b32_e64 v38, 8, 12, vcc
	v_cndmask_b32_e64 v7, v7, v39, s[88:89]
	v_cndmask_b32_e64 v6, v6, v39, s[62:63]
	v_cmp_eq_u32_e64 s[62:63], 1, v38
	v_cndmask_b32_e64 v26, v26, v39, s[86:87]
	v_cndmask_b32_e64 v27, v27, v39, s[84:85]
	;; [unrolled: 1-line block ×11, first 2 shown]
	v_cndmask_b32_e32 v31, v31, v39, vcc
	v_cndmask_b32_e64 v4, v4, v39, s[6:7]
	v_cndmask_b32_e64 v39, v6, v34, s[62:63]
	v_cmp_eq_u32_e64 s[64:65], 2, v38
	v_cmp_eq_u32_e64 s[66:67], 3, v38
	;; [unrolled: 1-line block ×3, first 2 shown]
	v_cndmask_b32_e64 v39, v39, v5, s[64:65]
	v_cndmask_b32_e64 v39, v39, v4, s[66:67]
	;; [unrolled: 1-line block ×3, first 2 shown]
	v_cmp_eq_u32_e64 s[70:71], 5, v38
	v_cmp_eq_u32_e64 s[72:73], 6, v38
	v_cmp_eq_u32_e64 s[74:75], 7, v38
	v_cndmask_b32_e64 v39, v39, v33, s[70:71]
	v_cndmask_b32_e64 v39, v39, v32, s[72:73]
	v_cndmask_b32_e64 v39, v39, v31, s[74:75]
	v_cndmask_b32_e64 v39, v39, v36, s[6:7]
	v_cmp_eq_u32_e64 s[76:77], 9, v38
	v_cmp_eq_u32_e64 s[80:81], 10, v38
	;; [unrolled: 1-line block ×3, first 2 shown]
	v_cndmask_b32_e64 v39, v39, v30, s[76:77]
	v_cndmask_b32_e64 v39, v39, v29, s[80:81]
	;; [unrolled: 1-line block ×3, first 2 shown]
	v_cndmask_b32_e32 v39, v39, v35, vcc
	v_cmp_eq_u32_e64 s[84:85], 13, v38
	v_cmp_eq_u32_e64 s[86:87], 14, v38
	;; [unrolled: 1-line block ×3, first 2 shown]
	v_cndmask_b32_e64 v39, v39, v27, s[84:85]
	v_cndmask_b32_e64 v39, v39, v26, s[86:87]
	;; [unrolled: 1-line block ×3, first 2 shown]
	v_and_b32_e32 v39, 0xff, v39
	ds_swizzle_b32 v39, v39 offset:swizzle(SWAP,4)
	s_waitcnt lgkmcnt(0)
	v_cndmask_b32_e64 v34, v34, v39, s[62:63]
	v_cmp_eq_u32_e64 s[62:63], 0, v38
	v_cndmask_b32_e64 v38, 9, 13, vcc
	v_cndmask_b32_e64 v7, v7, v39, s[88:89]
	v_cndmask_b32_e64 v6, v6, v39, s[62:63]
	v_cmp_eq_u32_e64 s[62:63], 1, v38
	v_cndmask_b32_e64 v26, v26, v39, s[86:87]
	v_cndmask_b32_e64 v27, v27, v39, s[84:85]
	;; [unrolled: 1-line block ×11, first 2 shown]
	v_cndmask_b32_e32 v35, v35, v39, vcc
	v_cndmask_b32_e64 v36, v36, v39, s[6:7]
	v_cndmask_b32_e64 v39, v6, v34, s[62:63]
	v_cmp_eq_u32_e64 s[64:65], 2, v38
	v_cmp_eq_u32_e64 s[66:67], 3, v38
	v_cmp_eq_u32_e64 s[68:69], 4, v38
	v_cndmask_b32_e64 v39, v39, v5, s[64:65]
	v_cndmask_b32_e64 v39, v39, v4, s[66:67]
	v_cndmask_b32_e64 v39, v39, v37, s[68:69]
	v_cmp_eq_u32_e64 s[70:71], 5, v38
	v_cmp_eq_u32_e64 s[72:73], 6, v38
	v_cmp_eq_u32_e64 s[74:75], 7, v38
	v_cndmask_b32_e64 v39, v39, v33, s[70:71]
	v_cndmask_b32_e64 v39, v39, v32, s[72:73]
	v_cndmask_b32_e64 v39, v39, v31, s[74:75]
	v_cmp_eq_u32_e64 s[76:77], 8, v38
	v_cmp_eq_u32_e64 s[80:81], 10, v38
	v_cmp_eq_u32_e64 s[82:83], 11, v38
	v_cndmask_b32_e64 v39, v39, v36, s[76:77]
	v_cndmask_b32_e64 v39, v39, v30, s[6:7]
	v_cndmask_b32_e64 v39, v39, v29, s[80:81]
	;; [unrolled: 1-line block ×3, first 2 shown]
	v_cmp_eq_u32_e64 s[84:85], 12, v38
	v_cmp_eq_u32_e64 s[86:87], 14, v38
	;; [unrolled: 1-line block ×3, first 2 shown]
	v_cndmask_b32_e64 v39, v39, v35, s[84:85]
	v_cndmask_b32_e32 v39, v39, v27, vcc
	v_cndmask_b32_e64 v39, v39, v26, s[86:87]
	v_cndmask_b32_e64 v39, v39, v7, s[88:89]
	v_and_b32_e32 v39, 0xff, v39
	ds_swizzle_b32 v39, v39 offset:swizzle(SWAP,4)
	s_waitcnt lgkmcnt(0)
	v_cndmask_b32_e64 v34, v34, v39, s[62:63]
	v_cmp_eq_u32_e64 s[62:63], 0, v38
	v_cndmask_b32_e64 v38, 10, 14, vcc
	v_cndmask_b32_e64 v7, v7, v39, s[88:89]
	v_cndmask_b32_e64 v6, v6, v39, s[62:63]
	v_cmp_eq_u32_e64 s[62:63], 1, v38
	v_cndmask_b32_e64 v26, v26, v39, s[86:87]
	v_cndmask_b32_e64 v35, v35, v39, s[84:85]
	;; [unrolled: 1-line block ×11, first 2 shown]
	v_cndmask_b32_e32 v27, v27, v39, vcc
	v_cndmask_b32_e64 v30, v30, v39, s[6:7]
	v_cndmask_b32_e64 v39, v6, v34, s[62:63]
	v_cmp_eq_u32_e64 s[64:65], 2, v38
	v_cmp_eq_u32_e64 s[66:67], 3, v38
	v_cmp_eq_u32_e64 s[68:69], 4, v38
	v_cndmask_b32_e64 v39, v39, v5, s[64:65]
	v_cndmask_b32_e64 v39, v39, v4, s[66:67]
	v_cndmask_b32_e64 v39, v39, v37, s[68:69]
	v_cmp_eq_u32_e64 s[70:71], 5, v38
	v_cmp_eq_u32_e64 s[72:73], 6, v38
	v_cmp_eq_u32_e64 s[74:75], 7, v38
	v_cndmask_b32_e64 v39, v39, v33, s[70:71]
	v_cndmask_b32_e64 v39, v39, v32, s[72:73]
	v_cndmask_b32_e64 v39, v39, v31, s[74:75]
	v_cmp_eq_u32_e64 s[76:77], 8, v38
	v_cmp_eq_u32_e64 s[80:81], 9, v38
	v_cmp_eq_u32_e64 s[82:83], 11, v38
	v_cndmask_b32_e64 v39, v39, v36, s[76:77]
	v_cndmask_b32_e64 v39, v39, v30, s[80:81]
	v_cndmask_b32_e64 v39, v39, v29, s[6:7]
	;; [unrolled: 1-line block ×3, first 2 shown]
	v_cmp_eq_u32_e64 s[84:85], 12, v38
	v_cmp_eq_u32_e64 s[86:87], 13, v38
	;; [unrolled: 1-line block ×3, first 2 shown]
	v_cndmask_b32_e64 v39, v39, v35, s[84:85]
	v_cndmask_b32_e64 v39, v39, v27, s[86:87]
	v_cndmask_b32_e32 v39, v39, v26, vcc
	v_cndmask_b32_e64 v39, v39, v7, s[88:89]
	v_and_b32_e32 v39, 0xff, v39
	ds_swizzle_b32 v39, v39 offset:swizzle(SWAP,4)
	s_waitcnt lgkmcnt(0)
	v_cndmask_b32_e64 v34, v34, v39, s[62:63]
	v_cmp_eq_u32_e64 s[62:63], 0, v38
	v_cndmask_b32_e64 v38, 11, 15, vcc
	v_cndmask_b32_e64 v7, v7, v39, s[88:89]
	v_cndmask_b32_e64 v6, v6, v39, s[62:63]
	v_cmp_eq_u32_e64 s[62:63], 1, v38
	v_cndmask_b32_e64 v27, v27, v39, s[86:87]
	v_cndmask_b32_e64 v35, v35, v39, s[84:85]
	;; [unrolled: 1-line block ×11, first 2 shown]
	v_cndmask_b32_e32 v26, v26, v39, vcc
	v_cndmask_b32_e64 v29, v29, v39, s[6:7]
	v_cndmask_b32_e64 v39, v6, v34, s[62:63]
	v_cmp_eq_u32_e64 s[64:65], 2, v38
	v_cmp_eq_u32_e64 s[66:67], 3, v38
	v_cmp_eq_u32_e64 s[68:69], 4, v38
	v_cndmask_b32_e64 v39, v39, v5, s[64:65]
	v_cndmask_b32_e64 v39, v39, v4, s[66:67]
	v_cndmask_b32_e64 v39, v39, v37, s[68:69]
	v_cmp_eq_u32_e64 s[70:71], 5, v38
	v_cmp_eq_u32_e64 s[72:73], 6, v38
	v_cmp_eq_u32_e64 s[74:75], 7, v38
	v_cndmask_b32_e64 v39, v39, v33, s[70:71]
	;; [unrolled: 6-line block ×3, first 2 shown]
	v_cndmask_b32_e64 v39, v39, v30, s[80:81]
	v_cndmask_b32_e64 v39, v39, v29, s[82:83]
	;; [unrolled: 1-line block ×3, first 2 shown]
	v_cmp_eq_u32_e64 s[84:85], 12, v38
	v_cmp_eq_u32_e64 s[86:87], 13, v38
	;; [unrolled: 1-line block ×3, first 2 shown]
	v_cndmask_b32_e64 v39, v39, v35, s[84:85]
	v_cndmask_b32_e64 v39, v39, v27, s[86:87]
	;; [unrolled: 1-line block ×3, first 2 shown]
	v_cndmask_b32_e32 v39, v39, v7, vcc
	v_and_b32_e32 v39, 0xff, v39
	ds_swizzle_b32 v39, v39 offset:swizzle(SWAP,4)
	s_waitcnt lgkmcnt(0)
	v_cndmask_b32_e32 v7, v7, v39, vcc
	v_cmp_eq_u32_e32 vcc, 0, v38
	v_and_b32_e32 v38, 2, v10
	v_cndmask_b32_e64 v26, v26, v39, s[88:89]
	v_cndmask_b32_e64 v27, v27, v39, s[86:87]
	;; [unrolled: 1-line block ×13, first 2 shown]
	v_cndmask_b32_e32 v6, v6, v39, vcc
	v_cndmask_b32_e64 v28, v28, v39, s[6:7]
	v_xor_b32_e32 v39, 2, v38
	v_cmp_eq_u32_e32 vcc, 1, v39
	v_cmp_eq_u32_e64 s[62:63], 2, v39
	v_cmp_eq_u32_e64 s[64:65], 3, v39
	v_cndmask_b32_e32 v40, v6, v34, vcc
	v_cndmask_b32_e64 v40, v40, v5, s[62:63]
	v_cndmask_b32_e64 v40, v40, v4, s[64:65]
	v_cmp_eq_u32_e64 s[66:67], 4, v39
	v_cmp_eq_u32_e64 s[68:69], 5, v39
	v_cmp_eq_u32_e64 s[70:71], 6, v39
	v_cndmask_b32_e64 v40, v40, v37, s[66:67]
	v_cndmask_b32_e64 v40, v40, v33, s[68:69]
	v_cndmask_b32_e64 v40, v40, v32, s[70:71]
	v_cmp_eq_u32_e64 s[72:73], 7, v39
	v_cmp_eq_u32_e64 s[74:75], 8, v39
	v_cmp_eq_u32_e64 s[76:77], 9, v39
	v_cndmask_b32_e64 v40, v40, v31, s[72:73]
	;; [unrolled: 6-line block ×4, first 2 shown]
	v_cndmask_b32_e64 v40, v40, v26, s[88:89]
	v_cndmask_b32_e64 v40, v40, v7, s[90:91]
	v_and_b32_e32 v40, 0xff, v40
	ds_swizzle_b32 v40, v40 offset:swizzle(SWAP,2)
	s_waitcnt lgkmcnt(0)
	v_cndmask_b32_e64 v5, v5, v40, s[62:63]
	v_cndmask_b32_e32 v34, v34, v40, vcc
	v_cmp_eq_u32_e32 vcc, 0, v39
	v_cmp_eq_u32_e64 s[62:63], 0, v38
	v_cndmask_b32_e64 v4, v4, v40, s[64:65]
	v_cndmask_b32_e32 v6, v6, v40, vcc
	v_cmp_ne_u32_e32 vcc, 0, v38
	v_cndmask_b32_e64 v38, 1, 3, s[62:63]
	v_cmp_eq_u32_e64 s[64:65], 2, v38
	v_cndmask_b32_e32 v39, v6, v34, vcc
	v_cndmask_b32_e64 v37, v37, v40, s[66:67]
	v_cndmask_b32_e64 v39, v39, v5, s[64:65]
	v_cndmask_b32_e64 v39, v39, v4, s[62:63]
	v_cmp_eq_u32_e64 s[66:67], 4, v38
	v_cndmask_b32_e64 v33, v33, v40, s[68:69]
	v_cmp_eq_u32_e64 s[68:69], 5, v38
	v_cndmask_b32_e64 v39, v39, v37, s[66:67]
	v_cndmask_b32_e64 v32, v32, v40, s[70:71]
	v_cndmask_b32_e64 v39, v39, v33, s[68:69]
	v_cmp_eq_u32_e64 s[70:71], 6, v38
	v_cndmask_b32_e64 v31, v31, v40, s[72:73]
	v_cmp_eq_u32_e64 s[72:73], 7, v38
	v_cndmask_b32_e64 v39, v39, v32, s[70:71]
	v_cndmask_b32_e64 v36, v36, v40, s[74:75]
	v_cndmask_b32_e64 v39, v39, v31, s[72:73]
	v_cmp_eq_u32_e64 s[74:75], 8, v38
	v_cndmask_b32_e64 v30, v30, v40, s[76:77]
	v_cmp_eq_u32_e64 s[76:77], 9, v38
	v_cndmask_b32_e64 v39, v39, v36, s[74:75]
	v_cndmask_b32_e64 v29, v29, v40, s[80:81]
	v_cndmask_b32_e64 v39, v39, v30, s[76:77]
	v_cmp_eq_u32_e64 s[80:81], 10, v38
	v_cndmask_b32_e64 v28, v28, v40, s[82:83]
	v_cmp_eq_u32_e64 s[82:83], 11, v38
	v_cndmask_b32_e64 v39, v39, v29, s[80:81]
	v_cndmask_b32_e64 v35, v35, v40, s[84:85]
	v_cndmask_b32_e64 v39, v39, v28, s[82:83]
	v_cmp_eq_u32_e64 s[84:85], 12, v38
	v_cndmask_b32_e64 v27, v27, v40, s[86:87]
	v_cmp_eq_u32_e64 s[86:87], 13, v38
	v_cndmask_b32_e64 v39, v39, v35, s[84:85]
	v_cndmask_b32_e64 v26, v26, v40, s[88:89]
	v_cndmask_b32_e64 v39, v39, v27, s[86:87]
	v_cmp_eq_u32_e64 s[88:89], 14, v38
	v_cndmask_b32_e64 v7, v7, v40, s[90:91]
	v_cmp_eq_u32_e64 s[90:91], 15, v38
	v_cndmask_b32_e64 v39, v39, v26, s[88:89]
	s_nop 0
	v_cndmask_b32_e64 v39, v39, v7, s[90:91]
	v_and_b32_e32 v39, 0xff, v39
	ds_swizzle_b32 v39, v39 offset:swizzle(SWAP,2)
	s_waitcnt lgkmcnt(0)
	v_cndmask_b32_e64 v5, v5, v39, s[64:65]
	v_cmp_eq_u32_e64 s[64:65], 0, v38
	v_cndmask_b32_e64 v38, 4, 6, s[62:63]
	v_cndmask_b32_e32 v34, v34, v39, vcc
	v_cndmask_b32_e64 v6, v6, v39, s[64:65]
	v_cmp_eq_u32_e64 s[64:65], 1, v38
	v_cndmask_b32_e64 v7, v7, v39, s[90:91]
	v_cndmask_b32_e64 v26, v26, v39, s[88:89]
	;; [unrolled: 1-line block ×14, first 2 shown]
	v_cmp_eq_u32_e64 s[66:67], 2, v38
	v_cmp_eq_u32_e64 s[68:69], 3, v38
	;; [unrolled: 1-line block ×3, first 2 shown]
	v_cndmask_b32_e64 v39, v39, v5, s[66:67]
	v_cndmask_b32_e64 v39, v39, v4, s[68:69]
	v_cndmask_b32_e32 v39, v39, v37, vcc
	v_cndmask_b32_e64 v39, v39, v33, s[70:71]
	v_cndmask_b32_e64 v39, v39, v32, s[62:63]
	v_cmp_eq_u32_e64 s[72:73], 7, v38
	v_cmp_eq_u32_e64 s[74:75], 8, v38
	v_cmp_eq_u32_e64 s[76:77], 9, v38
	v_cndmask_b32_e64 v39, v39, v31, s[72:73]
	v_cndmask_b32_e64 v39, v39, v36, s[74:75]
	v_cndmask_b32_e64 v39, v39, v30, s[76:77]
	v_cmp_eq_u32_e64 s[80:81], 10, v38
	v_cmp_eq_u32_e64 s[82:83], 11, v38
	v_cmp_eq_u32_e64 s[84:85], 12, v38
	v_cndmask_b32_e64 v39, v39, v29, s[80:81]
	;; [unrolled: 6-line block ×3, first 2 shown]
	v_cndmask_b32_e64 v39, v39, v26, s[88:89]
	v_cndmask_b32_e64 v39, v39, v7, s[90:91]
	v_and_b32_e32 v39, 0xff, v39
	ds_swizzle_b32 v39, v39 offset:swizzle(SWAP,2)
	s_waitcnt lgkmcnt(0)
	v_cndmask_b32_e64 v34, v34, v39, s[64:65]
	v_cmp_eq_u32_e64 s[64:65], 0, v38
	v_cndmask_b32_e64 v38, 5, 7, s[62:63]
	v_cndmask_b32_e64 v7, v7, v39, s[90:91]
	;; [unrolled: 1-line block ×3, first 2 shown]
	v_cmp_eq_u32_e64 s[64:65], 1, v38
	v_cndmask_b32_e64 v26, v26, v39, s[88:89]
	v_cndmask_b32_e64 v27, v27, v39, s[86:87]
	;; [unrolled: 1-line block ×12, first 2 shown]
	v_cndmask_b32_e32 v37, v37, v39, vcc
	v_cndmask_b32_e64 v39, v6, v34, s[64:65]
	v_cmp_eq_u32_e64 s[66:67], 2, v38
	v_cmp_eq_u32_e64 s[68:69], 3, v38
	;; [unrolled: 1-line block ×3, first 2 shown]
	v_cndmask_b32_e64 v39, v39, v5, s[66:67]
	v_cndmask_b32_e64 v39, v39, v4, s[68:69]
	;; [unrolled: 1-line block ×3, first 2 shown]
	v_cndmask_b32_e32 v39, v39, v33, vcc
	v_cmp_eq_u32_e64 s[72:73], 6, v38
	v_cmp_eq_u32_e64 s[74:75], 8, v38
	;; [unrolled: 1-line block ×3, first 2 shown]
	v_cndmask_b32_e64 v39, v39, v32, s[72:73]
	v_cndmask_b32_e64 v39, v39, v31, s[62:63]
	;; [unrolled: 1-line block ×4, first 2 shown]
	v_cmp_eq_u32_e64 s[80:81], 10, v38
	v_cmp_eq_u32_e64 s[82:83], 11, v38
	v_cmp_eq_u32_e64 s[84:85], 12, v38
	v_cndmask_b32_e64 v39, v39, v29, s[80:81]
	v_cndmask_b32_e64 v39, v39, v28, s[82:83]
	v_cndmask_b32_e64 v39, v39, v35, s[84:85]
	v_cmp_eq_u32_e64 s[86:87], 13, v38
	v_cmp_eq_u32_e64 s[88:89], 14, v38
	;; [unrolled: 1-line block ×3, first 2 shown]
	v_cndmask_b32_e64 v39, v39, v27, s[86:87]
	v_cndmask_b32_e64 v39, v39, v26, s[88:89]
	;; [unrolled: 1-line block ×3, first 2 shown]
	v_and_b32_e32 v39, 0xff, v39
	ds_swizzle_b32 v39, v39 offset:swizzle(SWAP,2)
	s_waitcnt lgkmcnt(0)
	v_cndmask_b32_e64 v34, v34, v39, s[64:65]
	v_cmp_eq_u32_e64 s[64:65], 0, v38
	v_cndmask_b32_e64 v38, 8, 10, s[62:63]
	v_cndmask_b32_e64 v7, v7, v39, s[90:91]
	;; [unrolled: 1-line block ×3, first 2 shown]
	v_cmp_eq_u32_e64 s[64:65], 1, v38
	v_cndmask_b32_e64 v26, v26, v39, s[88:89]
	v_cndmask_b32_e64 v27, v27, v39, s[86:87]
	;; [unrolled: 1-line block ×12, first 2 shown]
	v_cndmask_b32_e32 v33, v33, v39, vcc
	v_cndmask_b32_e64 v39, v6, v34, s[64:65]
	v_cmp_eq_u32_e64 s[66:67], 2, v38
	v_cmp_eq_u32_e64 s[68:69], 3, v38
	;; [unrolled: 1-line block ×3, first 2 shown]
	v_cndmask_b32_e64 v39, v39, v5, s[66:67]
	v_cndmask_b32_e64 v39, v39, v4, s[68:69]
	v_cndmask_b32_e64 v39, v39, v37, s[70:71]
	v_cmp_eq_u32_e64 s[72:73], 5, v38
	v_cmp_eq_u32_e64 s[74:75], 6, v38
	;; [unrolled: 1-line block ×3, first 2 shown]
	v_cndmask_b32_e64 v39, v39, v33, s[72:73]
	v_cndmask_b32_e64 v39, v39, v32, s[74:75]
	;; [unrolled: 1-line block ×3, first 2 shown]
	v_cndmask_b32_e32 v39, v39, v36, vcc
	v_cmp_eq_u32_e64 s[80:81], 9, v38
	v_cmp_eq_u32_e64 s[82:83], 11, v38
	;; [unrolled: 1-line block ×3, first 2 shown]
	v_cndmask_b32_e64 v39, v39, v30, s[80:81]
	v_cndmask_b32_e64 v39, v39, v29, s[62:63]
	;; [unrolled: 1-line block ×4, first 2 shown]
	v_cmp_eq_u32_e64 s[86:87], 13, v38
	v_cmp_eq_u32_e64 s[88:89], 14, v38
	;; [unrolled: 1-line block ×3, first 2 shown]
	v_cndmask_b32_e64 v39, v39, v27, s[86:87]
	v_cndmask_b32_e64 v39, v39, v26, s[88:89]
	;; [unrolled: 1-line block ×3, first 2 shown]
	v_and_b32_e32 v39, 0xff, v39
	ds_swizzle_b32 v39, v39 offset:swizzle(SWAP,2)
	s_waitcnt lgkmcnt(0)
	v_cndmask_b32_e64 v34, v34, v39, s[64:65]
	v_cmp_eq_u32_e64 s[64:65], 0, v38
	v_cndmask_b32_e64 v38, 9, 11, s[62:63]
	v_cndmask_b32_e64 v7, v7, v39, s[90:91]
	;; [unrolled: 1-line block ×3, first 2 shown]
	v_cmp_eq_u32_e64 s[64:65], 1, v38
	v_cndmask_b32_e64 v26, v26, v39, s[88:89]
	v_cndmask_b32_e64 v27, v27, v39, s[86:87]
	;; [unrolled: 1-line block ×12, first 2 shown]
	v_cndmask_b32_e32 v36, v36, v39, vcc
	v_cndmask_b32_e64 v39, v6, v34, s[64:65]
	v_cmp_eq_u32_e64 s[66:67], 2, v38
	v_cmp_eq_u32_e64 s[68:69], 3, v38
	;; [unrolled: 1-line block ×3, first 2 shown]
	v_cndmask_b32_e64 v39, v39, v5, s[66:67]
	v_cndmask_b32_e64 v39, v39, v4, s[68:69]
	;; [unrolled: 1-line block ×3, first 2 shown]
	v_cmp_eq_u32_e64 s[72:73], 5, v38
	v_cmp_eq_u32_e64 s[74:75], 6, v38
	;; [unrolled: 1-line block ×3, first 2 shown]
	v_cndmask_b32_e64 v39, v39, v33, s[72:73]
	v_cndmask_b32_e64 v39, v39, v32, s[74:75]
	;; [unrolled: 1-line block ×3, first 2 shown]
	v_cmp_eq_u32_e64 s[80:81], 8, v38
	v_cmp_eq_u32_e64 s[82:83], 10, v38
	;; [unrolled: 1-line block ×3, first 2 shown]
	v_cndmask_b32_e64 v39, v39, v36, s[80:81]
	v_cndmask_b32_e32 v39, v39, v30, vcc
	v_cndmask_b32_e64 v39, v39, v29, s[82:83]
	v_cndmask_b32_e64 v39, v39, v28, s[62:63]
	;; [unrolled: 1-line block ×3, first 2 shown]
	v_cmp_eq_u32_e64 s[86:87], 13, v38
	v_cmp_eq_u32_e64 s[88:89], 14, v38
	;; [unrolled: 1-line block ×3, first 2 shown]
	v_cndmask_b32_e64 v39, v39, v27, s[86:87]
	v_cndmask_b32_e64 v39, v39, v26, s[88:89]
	;; [unrolled: 1-line block ×3, first 2 shown]
	v_and_b32_e32 v39, 0xff, v39
	ds_swizzle_b32 v39, v39 offset:swizzle(SWAP,2)
	s_waitcnt lgkmcnt(0)
	v_cndmask_b32_e64 v34, v34, v39, s[64:65]
	v_cmp_eq_u32_e64 s[64:65], 0, v38
	v_cndmask_b32_e64 v38, 12, 14, s[62:63]
	v_cndmask_b32_e64 v7, v7, v39, s[90:91]
	;; [unrolled: 1-line block ×3, first 2 shown]
	v_cmp_eq_u32_e64 s[64:65], 1, v38
	v_cndmask_b32_e64 v26, v26, v39, s[88:89]
	v_cndmask_b32_e64 v27, v27, v39, s[86:87]
	;; [unrolled: 1-line block ×12, first 2 shown]
	v_cndmask_b32_e32 v30, v30, v39, vcc
	v_cndmask_b32_e64 v39, v6, v34, s[64:65]
	v_cmp_eq_u32_e64 s[66:67], 2, v38
	v_cmp_eq_u32_e64 s[68:69], 3, v38
	v_cmp_eq_u32_e64 s[70:71], 4, v38
	v_cndmask_b32_e64 v39, v39, v5, s[66:67]
	v_cndmask_b32_e64 v39, v39, v4, s[68:69]
	v_cndmask_b32_e64 v39, v39, v37, s[70:71]
	v_cmp_eq_u32_e64 s[72:73], 5, v38
	v_cmp_eq_u32_e64 s[74:75], 6, v38
	v_cmp_eq_u32_e64 s[76:77], 7, v38
	v_cndmask_b32_e64 v39, v39, v33, s[72:73]
	v_cndmask_b32_e64 v39, v39, v32, s[74:75]
	;; [unrolled: 6-line block ×3, first 2 shown]
	v_cndmask_b32_e64 v39, v39, v29, s[84:85]
	v_cmp_eq_u32_e64 s[86:87], 11, v38
	v_cmp_eq_u32_e64 s[88:89], 13, v38
	;; [unrolled: 1-line block ×3, first 2 shown]
	v_cndmask_b32_e64 v39, v39, v28, s[86:87]
	v_cndmask_b32_e32 v39, v39, v35, vcc
	v_cndmask_b32_e64 v39, v39, v27, s[88:89]
	v_cndmask_b32_e64 v39, v39, v26, s[62:63]
	;; [unrolled: 1-line block ×3, first 2 shown]
	v_and_b32_e32 v39, 0xff, v39
	ds_swizzle_b32 v39, v39 offset:swizzle(SWAP,2)
	s_waitcnt lgkmcnt(0)
	v_cndmask_b32_e64 v34, v34, v39, s[64:65]
	v_cmp_eq_u32_e64 s[64:65], 0, v38
	v_cndmask_b32_e64 v38, 13, 15, s[62:63]
	v_cndmask_b32_e64 v7, v7, v39, s[90:91]
	;; [unrolled: 1-line block ×3, first 2 shown]
	v_cmp_eq_u32_e64 s[64:65], 1, v38
	v_cndmask_b32_e64 v27, v27, v39, s[88:89]
	v_cndmask_b32_e64 v28, v28, v39, s[86:87]
	;; [unrolled: 1-line block ×12, first 2 shown]
	v_cndmask_b32_e32 v35, v35, v39, vcc
	v_cndmask_b32_e64 v39, v6, v34, s[64:65]
	v_cmp_eq_u32_e64 s[66:67], 2, v38
	v_cmp_eq_u32_e64 s[68:69], 3, v38
	v_cmp_eq_u32_e64 s[70:71], 4, v38
	v_cndmask_b32_e64 v39, v39, v5, s[66:67]
	v_cndmask_b32_e64 v39, v39, v4, s[68:69]
	v_cndmask_b32_e64 v39, v39, v37, s[70:71]
	v_cmp_eq_u32_e64 s[72:73], 5, v38
	v_cmp_eq_u32_e64 s[74:75], 6, v38
	v_cmp_eq_u32_e64 s[76:77], 7, v38
	v_cndmask_b32_e64 v39, v39, v33, s[72:73]
	v_cndmask_b32_e64 v39, v39, v32, s[74:75]
	;; [unrolled: 6-line block ×4, first 2 shown]
	v_cndmask_b32_e32 v39, v39, v27, vcc
	v_cndmask_b32_e64 v39, v39, v26, s[90:91]
	v_cndmask_b32_e64 v39, v39, v7, s[62:63]
	v_and_b32_e32 v39, 0xff, v39
	ds_swizzle_b32 v39, v39 offset:swizzle(SWAP,2)
	s_waitcnt lgkmcnt(0)
	v_cndmask_b32_e32 v27, v27, v39, vcc
	v_cmp_eq_u32_e32 vcc, 0, v38
	v_and_b32_e32 v38, 1, v10
	v_cndmask_b32_e64 v7, v7, v39, s[62:63]
	v_cndmask_b32_e64 v26, v26, v39, s[90:91]
	;; [unrolled: 1-line block ×13, first 2 shown]
	v_cndmask_b32_e32 v6, v6, v39, vcc
	v_cndmask_b32_e64 v34, v34, v39, s[64:65]
	v_xor_b32_e32 v39, 1, v38
	v_cmp_eq_u32_e64 s[62:63], 1, v38
	v_cmp_eq_u32_e32 vcc, 2, v39
	v_cmp_eq_u32_e64 s[64:65], 3, v39
	v_cndmask_b32_e64 v40, v34, v6, s[62:63]
	v_cndmask_b32_e32 v40, v40, v5, vcc
	v_cndmask_b32_e64 v40, v40, v4, s[64:65]
	v_cmp_eq_u32_e64 s[66:67], 4, v39
	v_cmp_eq_u32_e64 s[68:69], 5, v39
	v_cmp_eq_u32_e64 s[70:71], 6, v39
	v_cndmask_b32_e64 v40, v40, v37, s[66:67]
	v_cndmask_b32_e64 v40, v40, v33, s[68:69]
	v_cndmask_b32_e64 v40, v40, v32, s[70:71]
	v_cmp_eq_u32_e64 s[72:73], 7, v39
	v_cmp_eq_u32_e64 s[74:75], 8, v39
	v_cmp_eq_u32_e64 s[76:77], 9, v39
	v_cndmask_b32_e64 v40, v40, v31, s[72:73]
	v_cndmask_b32_e64 v40, v40, v36, s[74:75]
	v_cndmask_b32_e64 v40, v40, v30, s[76:77]
	v_cmp_eq_u32_e64 s[80:81], 10, v39
	v_cmp_eq_u32_e64 s[82:83], 11, v39
	v_cmp_eq_u32_e64 s[84:85], 12, v39
	v_cndmask_b32_e64 v40, v40, v29, s[80:81]
	v_cndmask_b32_e64 v40, v40, v28, s[82:83]
	v_cndmask_b32_e64 v40, v40, v35, s[84:85]
	v_cmp_eq_u32_e64 s[86:87], 13, v39
	v_cmp_eq_u32_e64 s[88:89], 14, v39
	v_cmp_eq_u32_e64 s[90:91], 15, v39
	v_cndmask_b32_e64 v40, v40, v27, s[86:87]
	v_cndmask_b32_e64 v40, v40, v26, s[88:89]
	v_cndmask_b32_e64 v39, v40, v7, s[90:91]
	v_and_b32_e32 v39, 0xff, v39
	ds_swizzle_b32 v39, v39 offset:swizzle(SWAP,1)
	s_waitcnt lgkmcnt(0)
	v_cndmask_b32_e32 v5, v5, v39, vcc
	v_cmp_eq_u32_e32 vcc, 0, v38
	v_cndmask_b32_e64 v4, v4, v39, s[64:65]
	v_cndmask_b32_e64 v34, v39, v34, s[62:63]
	v_cndmask_b32_e64 v38, 2, 3, vcc
	v_cndmask_b32_e64 v6, v6, v39, s[62:63]
	v_cmp_eq_u32_e64 s[64:65], 1, v38
	v_cndmask_b32_e64 v7, v7, v39, s[90:91]
	v_cndmask_b32_e64 v26, v26, v39, s[88:89]
	;; [unrolled: 1-line block ×14, first 2 shown]
	v_cndmask_b32_e32 v39, v39, v4, vcc
	v_cmp_eq_u32_e64 s[66:67], 4, v38
	v_cmp_eq_u32_e64 s[68:69], 5, v38
	v_cmp_eq_u32_e64 s[70:71], 6, v38
	v_cndmask_b32_e64 v39, v39, v37, s[66:67]
	v_cndmask_b32_e64 v39, v39, v33, s[68:69]
	v_cndmask_b32_e64 v39, v39, v32, s[70:71]
	v_cmp_eq_u32_e64 s[72:73], 7, v38
	v_cmp_eq_u32_e64 s[74:75], 8, v38
	v_cmp_eq_u32_e64 s[76:77], 9, v38
	v_cndmask_b32_e64 v39, v39, v31, s[72:73]
	v_cndmask_b32_e64 v39, v39, v36, s[74:75]
	v_cndmask_b32_e64 v39, v39, v30, s[76:77]
	;; [unrolled: 6-line block ×4, first 2 shown]
	v_and_b32_e32 v39, 0xff, v39
	ds_swizzle_b32 v39, v39 offset:swizzle(SWAP,1)
	s_waitcnt lgkmcnt(0)
	v_cndmask_b32_e64 v34, v34, v39, s[64:65]
	v_cmp_eq_u32_e64 s[64:65], 0, v38
	v_cndmask_b32_e64 v38, 4, 5, vcc
	v_cndmask_b32_e64 v7, v7, v39, s[90:91]
	v_cndmask_b32_e64 v6, v6, v39, s[64:65]
	v_cmp_eq_u32_e64 s[64:65], 1, v38
	v_cndmask_b32_e64 v26, v26, v39, s[88:89]
	v_cndmask_b32_e64 v27, v27, v39, s[86:87]
	v_cndmask_b32_e64 v35, v35, v39, s[84:85]
	v_cndmask_b32_e64 v28, v28, v39, s[82:83]
	v_cndmask_b32_e64 v29, v29, v39, s[80:81]
	v_cndmask_b32_e64 v30, v30, v39, s[76:77]
	v_cndmask_b32_e64 v36, v36, v39, s[74:75]
	v_cndmask_b32_e64 v31, v31, v39, s[72:73]
	v_cndmask_b32_e64 v32, v32, v39, s[70:71]
	v_cndmask_b32_e64 v33, v33, v39, s[68:69]
	v_cndmask_b32_e64 v37, v37, v39, s[66:67]
	v_cndmask_b32_e32 v4, v4, v39, vcc
	v_cndmask_b32_e64 v5, v5, v39, s[62:63]
	v_cndmask_b32_e64 v39, v6, v34, s[64:65]
	v_cmp_eq_u32_e64 s[66:67], 2, v38
	v_cmp_eq_u32_e64 s[68:69], 3, v38
	;; [unrolled: 1-line block ×3, first 2 shown]
	v_cndmask_b32_e64 v39, v39, v5, s[66:67]
	v_cndmask_b32_e64 v39, v39, v4, s[68:69]
	;; [unrolled: 1-line block ×3, first 2 shown]
	v_cndmask_b32_e32 v39, v39, v33, vcc
	v_cndmask_b32_e64 v39, v39, v32, s[70:71]
	v_cmp_eq_u32_e64 s[72:73], 7, v38
	v_cmp_eq_u32_e64 s[74:75], 8, v38
	v_cmp_eq_u32_e64 s[76:77], 9, v38
	v_cndmask_b32_e64 v39, v39, v31, s[72:73]
	v_cndmask_b32_e64 v39, v39, v36, s[74:75]
	v_cndmask_b32_e64 v39, v39, v30, s[76:77]
	v_cmp_eq_u32_e64 s[80:81], 10, v38
	v_cmp_eq_u32_e64 s[82:83], 11, v38
	v_cmp_eq_u32_e64 s[84:85], 12, v38
	v_cndmask_b32_e64 v39, v39, v29, s[80:81]
	v_cndmask_b32_e64 v39, v39, v28, s[82:83]
	;; [unrolled: 6-line block ×3, first 2 shown]
	v_cndmask_b32_e64 v39, v39, v7, s[90:91]
	v_and_b32_e32 v39, 0xff, v39
	ds_swizzle_b32 v39, v39 offset:swizzle(SWAP,1)
	s_waitcnt lgkmcnt(0)
	v_cndmask_b32_e64 v34, v34, v39, s[64:65]
	v_cmp_eq_u32_e64 s[64:65], 0, v38
	v_cndmask_b32_e64 v38, 6, 7, vcc
	v_cndmask_b32_e64 v7, v7, v39, s[90:91]
	v_cndmask_b32_e64 v6, v6, v39, s[64:65]
	v_cmp_eq_u32_e64 s[64:65], 1, v38
	v_cndmask_b32_e64 v26, v26, v39, s[88:89]
	v_cndmask_b32_e64 v27, v27, v39, s[86:87]
	;; [unrolled: 1-line block ×11, first 2 shown]
	v_cndmask_b32_e32 v33, v33, v39, vcc
	v_cndmask_b32_e64 v37, v37, v39, s[62:63]
	v_cndmask_b32_e64 v39, v6, v34, s[64:65]
	v_cmp_eq_u32_e64 s[66:67], 2, v38
	v_cmp_eq_u32_e64 s[68:69], 3, v38
	;; [unrolled: 1-line block ×3, first 2 shown]
	v_cndmask_b32_e64 v39, v39, v5, s[66:67]
	v_cndmask_b32_e64 v39, v39, v4, s[68:69]
	;; [unrolled: 1-line block ×3, first 2 shown]
	v_cmp_eq_u32_e64 s[72:73], 5, v38
	v_cmp_eq_u32_e64 s[74:75], 8, v38
	;; [unrolled: 1-line block ×3, first 2 shown]
	v_cndmask_b32_e64 v39, v39, v33, s[72:73]
	v_cndmask_b32_e64 v39, v39, v32, s[62:63]
	v_cndmask_b32_e32 v39, v39, v31, vcc
	v_cndmask_b32_e64 v39, v39, v36, s[74:75]
	v_cndmask_b32_e64 v39, v39, v30, s[76:77]
	v_cmp_eq_u32_e64 s[80:81], 10, v38
	v_cmp_eq_u32_e64 s[82:83], 11, v38
	;; [unrolled: 1-line block ×3, first 2 shown]
	v_cndmask_b32_e64 v39, v39, v29, s[80:81]
	v_cndmask_b32_e64 v39, v39, v28, s[82:83]
	;; [unrolled: 1-line block ×3, first 2 shown]
	v_cmp_eq_u32_e64 s[86:87], 13, v38
	v_cmp_eq_u32_e64 s[88:89], 14, v38
	;; [unrolled: 1-line block ×3, first 2 shown]
	v_cndmask_b32_e64 v39, v39, v27, s[86:87]
	v_cndmask_b32_e64 v39, v39, v26, s[88:89]
	;; [unrolled: 1-line block ×3, first 2 shown]
	v_and_b32_e32 v39, 0xff, v39
	ds_swizzle_b32 v39, v39 offset:swizzle(SWAP,1)
	s_waitcnt lgkmcnt(0)
	v_cndmask_b32_e64 v34, v34, v39, s[64:65]
	v_cmp_eq_u32_e64 s[64:65], 0, v38
	v_cndmask_b32_e64 v38, 8, 9, vcc
	v_cndmask_b32_e64 v7, v7, v39, s[90:91]
	v_cndmask_b32_e64 v6, v6, v39, s[64:65]
	v_cmp_eq_u32_e64 s[64:65], 1, v38
	v_cndmask_b32_e64 v26, v26, v39, s[88:89]
	v_cndmask_b32_e64 v27, v27, v39, s[86:87]
	;; [unrolled: 1-line block ×11, first 2 shown]
	v_cndmask_b32_e32 v31, v31, v39, vcc
	v_cndmask_b32_e64 v32, v32, v39, s[62:63]
	v_cndmask_b32_e64 v39, v6, v34, s[64:65]
	v_cmp_eq_u32_e64 s[66:67], 2, v38
	v_cmp_eq_u32_e64 s[68:69], 3, v38
	;; [unrolled: 1-line block ×3, first 2 shown]
	v_cndmask_b32_e64 v39, v39, v5, s[66:67]
	v_cndmask_b32_e64 v39, v39, v4, s[68:69]
	;; [unrolled: 1-line block ×3, first 2 shown]
	v_cmp_eq_u32_e64 s[72:73], 5, v38
	v_cmp_eq_u32_e64 s[74:75], 6, v38
	;; [unrolled: 1-line block ×3, first 2 shown]
	v_cndmask_b32_e64 v39, v39, v33, s[72:73]
	v_cndmask_b32_e64 v39, v39, v32, s[74:75]
	;; [unrolled: 1-line block ×4, first 2 shown]
	v_cndmask_b32_e32 v39, v39, v30, vcc
	v_cmp_eq_u32_e64 s[80:81], 10, v38
	v_cmp_eq_u32_e64 s[82:83], 11, v38
	;; [unrolled: 1-line block ×3, first 2 shown]
	v_cndmask_b32_e64 v39, v39, v29, s[80:81]
	v_cndmask_b32_e64 v39, v39, v28, s[82:83]
	;; [unrolled: 1-line block ×3, first 2 shown]
	v_cmp_eq_u32_e64 s[86:87], 13, v38
	v_cmp_eq_u32_e64 s[88:89], 14, v38
	v_cmp_eq_u32_e64 s[90:91], 15, v38
	v_cndmask_b32_e64 v39, v39, v27, s[86:87]
	v_cndmask_b32_e64 v39, v39, v26, s[88:89]
	;; [unrolled: 1-line block ×3, first 2 shown]
	v_and_b32_e32 v39, 0xff, v39
	ds_swizzle_b32 v39, v39 offset:swizzle(SWAP,1)
	s_waitcnt lgkmcnt(0)
	v_cndmask_b32_e64 v34, v34, v39, s[64:65]
	v_cmp_eq_u32_e64 s[64:65], 0, v38
	v_cndmask_b32_e64 v38, 10, 11, vcc
	v_cndmask_b32_e64 v7, v7, v39, s[90:91]
	v_cndmask_b32_e64 v6, v6, v39, s[64:65]
	v_cmp_eq_u32_e64 s[64:65], 1, v38
	v_cndmask_b32_e64 v26, v26, v39, s[88:89]
	v_cndmask_b32_e64 v27, v27, v39, s[86:87]
	;; [unrolled: 1-line block ×11, first 2 shown]
	v_cndmask_b32_e32 v30, v30, v39, vcc
	v_cndmask_b32_e64 v36, v36, v39, s[62:63]
	v_cndmask_b32_e64 v39, v6, v34, s[64:65]
	v_cmp_eq_u32_e64 s[66:67], 2, v38
	v_cmp_eq_u32_e64 s[68:69], 3, v38
	v_cmp_eq_u32_e64 s[70:71], 4, v38
	v_cndmask_b32_e64 v39, v39, v5, s[66:67]
	v_cndmask_b32_e64 v39, v39, v4, s[68:69]
	v_cndmask_b32_e64 v39, v39, v37, s[70:71]
	v_cmp_eq_u32_e64 s[72:73], 5, v38
	v_cmp_eq_u32_e64 s[74:75], 6, v38
	v_cmp_eq_u32_e64 s[76:77], 7, v38
	v_cndmask_b32_e64 v39, v39, v33, s[72:73]
	;; [unrolled: 6-line block ×3, first 2 shown]
	v_cndmask_b32_e64 v39, v39, v30, s[82:83]
	v_cndmask_b32_e64 v39, v39, v29, s[62:63]
	v_cndmask_b32_e32 v39, v39, v28, vcc
	v_cndmask_b32_e64 v39, v39, v35, s[84:85]
	v_cmp_eq_u32_e64 s[86:87], 13, v38
	v_cmp_eq_u32_e64 s[88:89], 14, v38
	;; [unrolled: 1-line block ×3, first 2 shown]
	v_cndmask_b32_e64 v39, v39, v27, s[86:87]
	v_cndmask_b32_e64 v39, v39, v26, s[88:89]
	;; [unrolled: 1-line block ×3, first 2 shown]
	v_and_b32_e32 v39, 0xff, v39
	ds_swizzle_b32 v39, v39 offset:swizzle(SWAP,1)
	s_waitcnt lgkmcnt(0)
	v_cndmask_b32_e64 v34, v34, v39, s[64:65]
	v_cmp_eq_u32_e64 s[64:65], 0, v38
	v_cndmask_b32_e64 v38, 12, 13, vcc
	v_cndmask_b32_e64 v7, v7, v39, s[90:91]
	v_cndmask_b32_e64 v6, v6, v39, s[64:65]
	v_cmp_eq_u32_e64 s[64:65], 1, v38
	v_cndmask_b32_e64 v26, v26, v39, s[88:89]
	v_cndmask_b32_e64 v27, v27, v39, s[86:87]
	v_cndmask_b32_e64 v35, v35, v39, s[84:85]
	v_cndmask_b32_e64 v30, v30, v39, s[82:83]
	v_cndmask_b32_e64 v36, v36, v39, s[80:81]
	v_cndmask_b32_e64 v31, v31, v39, s[76:77]
	v_cndmask_b32_e64 v32, v32, v39, s[74:75]
	v_cndmask_b32_e64 v33, v33, v39, s[72:73]
	v_cndmask_b32_e64 v37, v37, v39, s[70:71]
	v_cndmask_b32_e64 v4, v4, v39, s[68:69]
	v_cndmask_b32_e64 v5, v5, v39, s[66:67]
	v_cndmask_b32_e32 v28, v28, v39, vcc
	v_cndmask_b32_e64 v29, v29, v39, s[62:63]
	v_cndmask_b32_e64 v39, v6, v34, s[64:65]
	v_cmp_eq_u32_e64 s[66:67], 2, v38
	v_cmp_eq_u32_e64 s[68:69], 3, v38
	v_cmp_eq_u32_e64 s[70:71], 4, v38
	v_cndmask_b32_e64 v39, v39, v5, s[66:67]
	v_cndmask_b32_e64 v39, v39, v4, s[68:69]
	v_cndmask_b32_e64 v39, v39, v37, s[70:71]
	v_cmp_eq_u32_e64 s[72:73], 5, v38
	v_cmp_eq_u32_e64 s[74:75], 6, v38
	v_cmp_eq_u32_e64 s[76:77], 7, v38
	v_cndmask_b32_e64 v39, v39, v33, s[72:73]
	;; [unrolled: 6-line block ×4, first 2 shown]
	v_cndmask_b32_e64 v39, v39, v35, s[62:63]
	v_cndmask_b32_e32 v39, v39, v27, vcc
	v_cndmask_b32_e64 v39, v39, v26, s[88:89]
	v_cndmask_b32_e64 v39, v39, v7, s[90:91]
	v_and_b32_e32 v39, 0xff, v39
	ds_swizzle_b32 v39, v39 offset:swizzle(SWAP,1)
	s_waitcnt lgkmcnt(0)
	v_cndmask_b32_e64 v34, v34, v39, s[64:65]
	v_cmp_eq_u32_e64 s[64:65], 0, v38
	v_cndmask_b32_e64 v38, 14, 15, vcc
	v_cndmask_b32_e64 v7, v7, v39, s[90:91]
	v_cndmask_b32_e64 v6, v6, v39, s[64:65]
	v_cmp_eq_u32_e64 s[64:65], 1, v38
	v_cndmask_b32_e64 v26, v26, v39, s[88:89]
	v_cndmask_b32_e64 v28, v28, v39, s[86:87]
	;; [unrolled: 1-line block ×11, first 2 shown]
	v_cndmask_b32_e32 v27, v27, v39, vcc
	v_cndmask_b32_e64 v35, v35, v39, s[62:63]
	v_cndmask_b32_e64 v39, v6, v34, s[64:65]
	v_cmp_eq_u32_e64 s[66:67], 2, v38
	v_cmp_eq_u32_e64 s[68:69], 3, v38
	v_cmp_eq_u32_e64 s[70:71], 4, v38
	v_cndmask_b32_e64 v39, v39, v5, s[66:67]
	v_cndmask_b32_e64 v39, v39, v4, s[68:69]
	v_cndmask_b32_e64 v39, v39, v37, s[70:71]
	v_cmp_eq_u32_e64 s[72:73], 5, v38
	v_cmp_eq_u32_e64 s[74:75], 6, v38
	v_cmp_eq_u32_e64 s[76:77], 7, v38
	v_cndmask_b32_e64 v39, v39, v33, s[72:73]
	v_cndmask_b32_e64 v39, v39, v32, s[74:75]
	v_cndmask_b32_e64 v39, v39, v31, s[76:77]
	v_cmp_eq_u32_e64 s[80:81], 8, v38
	v_cmp_eq_u32_e64 s[82:83], 9, v38
	v_cmp_eq_u32_e64 s[84:85], 10, v38
	v_cndmask_b32_e64 v39, v39, v36, s[80:81]
	v_cndmask_b32_e64 v39, v39, v30, s[82:83]
	v_cndmask_b32_e64 v39, v39, v29, s[84:85]
	v_cmp_eq_u32_e64 s[86:87], 11, v38
	v_cmp_eq_u32_e64 s[88:89], 12, v38
	v_cmp_eq_u32_e64 s[90:91], 13, v38
	v_cndmask_b32_e64 v39, v39, v28, s[86:87]
	v_cndmask_b32_e64 v39, v39, v35, s[88:89]
	v_cndmask_b32_e64 v39, v39, v27, s[90:91]
	;; [unrolled: 1-line block ×3, first 2 shown]
	v_cndmask_b32_e32 v39, v39, v7, vcc
	v_and_b32_e32 v39, 0xff, v39
	ds_swizzle_b32 v39, v39 offset:swizzle(SWAP,1)
	s_waitcnt lgkmcnt(0)
	v_cndmask_b32_e64 v27, v27, v39, s[90:91]
	v_cndmask_b32_e32 v7, v7, v39, vcc
	v_cmp_eq_u32_e32 vcc, 0, v38
	v_cndmask_b32_e64 v35, v35, v39, s[88:89]
	v_cndmask_b32_e64 v26, v26, v39, s[62:63]
	;; [unrolled: 1-line block ×11, first 2 shown]
	v_cndmask_b32_e32 v38, v6, v39, vcc
	v_cndmask_b32_e64 v4, v4, v39, s[68:69]
	v_cndmask_b32_e64 v39, v5, v39, s[66:67]
	v_lshlrev_b16_e32 v5, 8, v27
	v_lshlrev_b16_e32 v6, 8, v7
	v_or_b32_sdwa v5, v35, v5 dst_sel:DWORD dst_unused:UNUSED_PAD src0_sel:BYTE_0 src1_sel:DWORD
	v_or_b32_sdwa v6, v26, v6 dst_sel:WORD_1 dst_unused:UNUSED_PAD src0_sel:BYTE_0 src1_sel:DWORD
	v_lshlrev_b16_e32 v26, 8, v31
	v_or_b32_sdwa v7, v5, v6 dst_sel:DWORD dst_unused:UNUSED_PAD src0_sel:WORD_0 src1_sel:DWORD
	v_lshlrev_b16_e32 v5, 8, v30
	v_lshlrev_b16_e32 v6, 8, v28
	v_or_b32_sdwa v5, v36, v5 dst_sel:DWORD dst_unused:UNUSED_PAD src0_sel:BYTE_0 src1_sel:DWORD
	v_or_b32_sdwa v6, v29, v6 dst_sel:WORD_1 dst_unused:UNUSED_PAD src0_sel:BYTE_0 src1_sel:DWORD
	v_or_b32_sdwa v26, v32, v26 dst_sel:WORD_1 dst_unused:UNUSED_PAD src0_sel:BYTE_0 src1_sel:DWORD
	v_or_b32_sdwa v6, v5, v6 dst_sel:DWORD dst_unused:UNUSED_PAD src0_sel:WORD_0 src1_sel:DWORD
	v_lshlrev_b16_e32 v5, 8, v33
	v_or_b32_sdwa v5, v37, v5 dst_sel:DWORD dst_unused:UNUSED_PAD src0_sel:BYTE_0 src1_sel:DWORD
	v_or_b32_sdwa v5, v5, v26 dst_sel:DWORD dst_unused:UNUSED_PAD src0_sel:WORD_0 src1_sel:DWORD
	v_lshlrev_b16_e32 v26, 8, v34
	v_lshlrev_b16_e32 v4, 8, v4
	v_or_b32_sdwa v26, v38, v26 dst_sel:DWORD dst_unused:UNUSED_PAD src0_sel:BYTE_0 src1_sel:DWORD
	v_or_b32_sdwa v4, v39, v4 dst_sel:WORD_1 dst_unused:UNUSED_PAD src0_sel:BYTE_0 src1_sel:DWORD
	s_mov_b64 s[62:63], 0
	v_or_b32_sdwa v4, v26, v4 dst_sel:DWORD dst_unused:UNUSED_PAD src0_sel:WORD_0 src1_sel:DWORD
	s_branch .LBB39_3
.LBB39_2:
	s_mov_b64 s[62:63], -1
                                        ; implicit-def: $vgpr4_vgpr5_vgpr6_vgpr7
.LBB39_3:
	v_readlane_b32 s0, v41, 8
	s_andn2_b64 vcc, exec, s[62:63]
	v_readlane_b32 s1, v41, 9
	s_cbranch_vccnz .LBB39_5
; %bb.4:
	ds_swizzle_b32 v6, v25 offset:swizzle(SWAP,8)
	v_readlane_b32 s2, v41, 36
	v_readlane_b32 s3, v41, 37
	v_lshrrev_b64 v[4:5], 24, v[2:3]
	v_readlane_b32 s68, v43, 6
	s_waitcnt lgkmcnt(0)
	v_cndmask_b32_e64 v7, v24, v6, s[2:3]
	v_readlane_b32 s2, v41, 34
	v_readlane_b32 s3, v41, 35
	v_cndmask_b32_e64 v15, v15, v6, s[0:1]
	v_readlane_b32 s0, v41, 24
	v_cndmask_b32_e64 v23, v23, v6, s[2:3]
	v_readlane_b32 s2, v41, 32
	v_readlane_b32 s3, v41, 33
	;; [unrolled: 1-line block ×4, first 2 shown]
	v_cndmask_b32_e64 v22, v22, v6, s[2:3]
	v_readlane_b32 s2, v41, 30
	v_readlane_b32 s3, v41, 31
	v_cndmask_b32_e64 v3, v3, v6, s[0:1]
	v_readlane_b32 s0, v41, 18
	v_cndmask_b32_e64 v24, v4, v6, s[2:3]
	v_readlane_b32 s2, v41, 28
	v_readlane_b32 s3, v41, 29
	v_readlane_b32 s1, v41, 19
	v_lshrrev_b64 v[4:5], 24, v[0:1]
	v_cndmask_b32_e64 v21, v21, v6, s[2:3]
	v_readlane_b32 s2, v41, 26
	v_readlane_b32 s3, v41, 27
	v_cndmask_b32_e64 v2, v2, v6, s[0:1]
	v_readlane_b32 s0, v41, 12
	v_cndmask_b32_e64 v20, v20, v6, s[2:3]
	v_readlane_b32 s2, v41, 22
	v_readlane_b32 s3, v41, 23
	v_readlane_b32 s1, v41, 13
	v_readlane_b32 s70, v43, 8
	v_cndmask_b32_e64 v19, v19, v6, s[2:3]
	v_readlane_b32 s2, v41, 20
	v_readlane_b32 s3, v41, 21
	v_cndmask_b32_e64 v1, v1, v6, s[0:1]
	v_readlane_b32 s0, v43, 4
	v_cndmask_b32_e64 v18, v18, v6, s[2:3]
	v_readlane_b32 s2, v41, 16
	v_readlane_b32 s3, v41, 17
	v_readlane_b32 s1, v43, 5
	v_readlane_b32 s71, v43, 9
	;; [unrolled: 10-line block ×3, first 2 shown]
	v_cndmask_b32_e64 v5, v16, v6, s[2:3]
	v_cndmask_b32_e64 v6, v0, v15, s[68:69]
	;; [unrolled: 1-line block ×4, first 2 shown]
	v_readlane_b32 s75, v43, 13
	v_readlane_b32 s76, v43, 14
	v_readlane_b32 s77, v43, 15
	v_cndmask_b32_e64 v6, v6, v1, s[74:75]
	v_readlane_b32 s80, v43, 16
	v_cndmask_b32_e64 v6, v6, v17, s[76:77]
	v_readlane_b32 s81, v43, 17
	v_readlane_b32 s0, v43, 18
	v_readlane_b32 s1, v43, 19
	v_cndmask_b32_e64 v6, v6, v18, s[80:81]
	v_readlane_b32 s10, v43, 20
	v_cndmask_b32_e64 v6, v6, v19, s[0:1]
	;; [unrolled: 6-line block ×6, first 2 shown]
	v_and_b32_e32 v6, 0xff, v6
	ds_swizzle_b32 v6, v6 offset:swizzle(SWAP,8)
	v_readlane_b32 s17, v43, 37
	v_readlane_b32 s14, v42, 14
	;; [unrolled: 1-line block ×4, first 2 shown]
	s_waitcnt lgkmcnt(0)
	v_cndmask_b32_e64 v19, v19, v6, s[0:1]
	v_readlane_b32 s0, v43, 34
	v_readlane_b32 s1, v43, 35
	v_cndmask_b32_e64 v15, v15, v6, s[68:69]
	v_cndmask_b32_e64 v7, v7, v6, s[8:9]
	;; [unrolled: 1-line block ×3, first 2 shown]
	v_readlane_b32 s0, v43, 38
	v_cndmask_b32_e64 v16, v23, v6, s[6:7]
	v_cndmask_b32_e64 v22, v22, v6, s[4:5]
	;; [unrolled: 1-line block ×13, first 2 shown]
	v_readlane_b32 s1, v43, 39
	v_readlane_b32 s30, v43, 40
	v_readlane_b32 s31, v43, 41
	v_cndmask_b32_e64 v6, v6, v5, s[0:1]
	v_readlane_b32 s34, v43, 42
	v_cndmask_b32_e64 v6, v6, v4, s[30:31]
	v_readlane_b32 s35, v43, 43
	v_readlane_b32 s36, v43, 44
	v_readlane_b32 s37, v43, 45
	v_cndmask_b32_e64 v6, v6, v1, s[34:35]
	v_readlane_b32 s2, v43, 46
	v_cndmask_b32_e64 v6, v6, v17, s[36:37]
	v_readlane_b32 s3, v43, 47
	v_readlane_b32 s4, v43, 48
	v_readlane_b32 s5, v43, 49
	v_cndmask_b32_e64 v6, v6, v18, s[2:3]
	v_readlane_b32 s6, v43, 50
	v_cndmask_b32_e64 v6, v6, v19, s[4:5]
	v_readlane_b32 s7, v43, 51
	v_readlane_b32 s8, v43, 52
	v_readlane_b32 s9, v43, 53
	v_cndmask_b32_e64 v6, v6, v2, s[6:7]
	v_readlane_b32 s10, v42, 6
	v_cndmask_b32_e64 v6, v6, v20, s[8:9]
	v_readlane_b32 s11, v42, 7
	v_readlane_b32 s12, v42, 10
	v_readlane_b32 s13, v42, 11
	v_cndmask_b32_e64 v6, v6, v21, s[10:11]
	v_readlane_b32 s19, v41, 3
	v_cndmask_b32_e64 v6, v6, v23, s[12:13]
	v_cndmask_b32_e64 v6, v6, v3, s[14:15]
	v_readlane_b32 s20, v41, 4
	v_cndmask_b32_e64 v6, v6, v22, s[18:19]
	v_readlane_b32 s21, v41, 5
	v_readlane_b32 s22, v41, 6
	;; [unrolled: 1-line block ×3, first 2 shown]
	v_cndmask_b32_e64 v6, v6, v16, s[20:21]
	v_readlane_b32 s24, v42, 58
	v_cndmask_b32_e64 v6, v6, v7, s[22:23]
	v_and_b32_e32 v6, 0xff, v6
	ds_swizzle_b32 v6, v6 offset:swizzle(SWAP,8)
	v_readlane_b32 s25, v42, 59
	v_readlane_b32 s26, v42, 60
	;; [unrolled: 1-line block ×4, first 2 shown]
	s_waitcnt lgkmcnt(0)
	v_cndmask_b32_e64 v5, v5, v6, s[0:1]
	v_readlane_b32 s0, v41, 0
	v_cndmask_b32_e64 v18, v18, v6, s[2:3]
	v_readlane_b32 s1, v41, 1
	v_readlane_b32 s2, v42, 22
	v_cndmask_b32_e64 v19, v19, v6, s[4:5]
	v_cndmask_b32_e64 v15, v15, v6, s[16:17]
	v_cndmask_b32_e64 v0, v0, v6, s[0:1]
	v_readlane_b32 s3, v42, 23
	v_readlane_b32 s4, v42, 26
	v_cndmask_b32_e64 v7, v7, v6, s[22:23]
	v_cndmask_b32_e64 v16, v16, v6, s[20:21]
	;; [unrolled: 1-line block ×12, first 2 shown]
	v_readlane_b32 s5, v42, 27
	v_readlane_b32 s6, v42, 30
	v_readlane_b32 s7, v42, 31
	v_cndmask_b32_e64 v6, v6, v5, s[4:5]
	v_readlane_b32 s8, v42, 34
	v_cndmask_b32_e64 v6, v6, v4, s[6:7]
	v_readlane_b32 s9, v42, 35
	v_readlane_b32 s10, v42, 38
	v_readlane_b32 s11, v42, 39
	v_cndmask_b32_e64 v6, v6, v1, s[8:9]
	v_readlane_b32 s0, v42, 42
	v_cndmask_b32_e64 v6, v6, v17, s[10:11]
	;; [unrolled: 6-line block ×5, first 2 shown]
	v_readlane_b32 s23, v42, 57
	v_readlane_b32 s29, v42, 63
	v_cmp_eq_u32_e32 vcc, 1, v14
	v_cndmask_b32_e64 v6, v6, v3, s[22:23]
	v_cndmask_b32_e64 v6, v6, v22, s[24:25]
	;; [unrolled: 1-line block ×4, first 2 shown]
	v_and_b32_e32 v6, 0xff, v6
	ds_swizzle_b32 v6, v6 offset:swizzle(SWAP,8)
	s_waitcnt lgkmcnt(0)
	v_cndmask_b32_e64 v18, v18, v6, s[0:1]
	v_readlane_b32 s0, v43, 56
	v_cndmask_b32_e64 v15, v15, v6, s[2:3]
	v_readlane_b32 s1, v43, 57
	v_readlane_b32 s2, v43, 58
	v_cndmask_b32_e64 v5, v5, v6, s[4:5]
	v_cndmask_b32_e64 v0, v0, v6, s[0:1]
	v_readlane_b32 s3, v43, 59
	v_readlane_b32 s4, v43, 60
	v_cndmask_b32_e64 v7, v7, v6, s[28:29]
	v_cndmask_b32_e64 v16, v16, v6, s[26:27]
	;; [unrolled: 1-line block ×13, first 2 shown]
	v_readlane_b32 s5, v43, 61
	v_readlane_b32 s6, v43, 62
	v_readlane_b32 s7, v43, 63
	v_cndmask_b32_e64 v6, v6, v5, s[4:5]
	v_readlane_b32 s8, v42, 4
	v_cndmask_b32_e64 v6, v6, v4, s[6:7]
	v_readlane_b32 s9, v42, 5
	v_readlane_b32 s10, v42, 8
	v_readlane_b32 s11, v42, 9
	v_cndmask_b32_e64 v6, v6, v1, s[8:9]
	v_readlane_b32 s12, v42, 12
	v_cndmask_b32_e64 v6, v6, v17, s[10:11]
	;; [unrolled: 6-line block ×6, first 2 shown]
	v_readlane_b32 s29, v42, 41
	v_readlane_b32 s0, v42, 46
	;; [unrolled: 1-line block ×3, first 2 shown]
	v_cndmask_b32_e64 v6, v6, v16, s[28:29]
	s_nop 0
	v_cndmask_b32_e64 v6, v6, v7, s[0:1]
	v_and_b32_e32 v6, 0xff, v6
	ds_swizzle_b32 v6, v6 offset:swizzle(SWAP,8)
	s_waitcnt lgkmcnt(0)
	v_cndmask_b32_e64 v15, v15, v6, s[2:3]
	v_readlane_b32 s2, v42, 0
	v_readlane_b32 s3, v42, 1
	v_cndmask_b32_e64 v7, v7, v6, s[0:1]
	v_cndmask_b32_e64 v16, v16, v6, s[28:29]
	;; [unrolled: 1-line block ×15, first 2 shown]
	v_cndmask_b32_e32 v6, v0, v15, vcc
	v_cmp_eq_u32_e64 s[2:3], 2, v14
	v_cmp_eq_u32_e64 s[4:5], 3, v14
	v_cmp_eq_u32_e64 s[6:7], 4, v14
	v_cndmask_b32_e64 v6, v6, v5, s[2:3]
	v_cndmask_b32_e64 v6, v6, v4, s[4:5]
	v_cndmask_b32_e64 v6, v6, v1, s[6:7]
	v_cmp_eq_u32_e64 s[8:9], 5, v14
	v_cmp_eq_u32_e64 s[10:11], 6, v14
	v_cmp_eq_u32_e64 s[12:13], 7, v14
	v_cndmask_b32_e64 v6, v6, v17, s[8:9]
	v_cndmask_b32_e64 v6, v6, v18, s[10:11]
	v_cndmask_b32_e64 v6, v6, v19, s[12:13]
	;; [unrolled: 6-line block ×4, first 2 shown]
	v_cmp_eq_u32_e64 s[26:27], 14, v14
	v_cmp_eq_u32_e64 s[28:29], 15, v14
	v_readlane_b32 s0, v42, 44
	v_cndmask_b32_e64 v6, v6, v16, s[26:27]
	v_cndmask_b32_e64 v6, v6, v7, s[28:29]
	v_and_b32_e32 v6, 0xff, v6
	ds_swizzle_b32 v6, v6 offset:swizzle(SWAP,8)
	v_readlane_b32 s1, v42, 45
	s_waitcnt lgkmcnt(0)
	v_cndmask_b32_e32 v15, v15, v6, vcc
	v_cmp_eq_u32_e32 vcc, 0, v14
	v_cndmask_b32_e64 v7, v7, v6, s[28:29]
	v_cndmask_b32_e64 v16, v16, v6, s[26:27]
	v_cndmask_b32_e32 v0, v0, v6, vcc
	v_cmp_eq_u32_e32 vcc, 1, v13
	v_cndmask_b32_e64 v22, v22, v6, s[24:25]
	v_cndmask_b32_e64 v3, v3, v6, s[22:23]
	;; [unrolled: 1-line block ×12, first 2 shown]
	v_cndmask_b32_e32 v6, v0, v15, vcc
	v_cmp_eq_u32_e64 s[2:3], 2, v13
	v_cmp_eq_u32_e64 s[4:5], 3, v13
	v_cmp_eq_u32_e64 s[6:7], 4, v13
	v_cndmask_b32_e64 v6, v6, v5, s[2:3]
	v_cndmask_b32_e64 v6, v6, v4, s[4:5]
	v_cndmask_b32_e64 v6, v6, v1, s[6:7]
	v_cmp_eq_u32_e64 s[8:9], 5, v13
	v_cmp_eq_u32_e64 s[10:11], 6, v13
	v_cmp_eq_u32_e64 s[12:13], 7, v13
	v_cndmask_b32_e64 v6, v6, v17, s[8:9]
	v_cndmask_b32_e64 v6, v6, v18, s[10:11]
	v_cndmask_b32_e64 v6, v6, v19, s[12:13]
	;; [unrolled: 6-line block ×4, first 2 shown]
	v_cmp_eq_u32_e64 s[26:27], 14, v13
	v_cmp_eq_u32_e64 s[28:29], 15, v13
	s_nop 0
	v_cndmask_b32_e64 v6, v6, v16, s[26:27]
	v_cndmask_b32_e64 v6, v6, v7, s[28:29]
	v_and_b32_e32 v6, 0xff, v6
	ds_swizzle_b32 v6, v6 offset:swizzle(SWAP,8)
	s_waitcnt lgkmcnt(0)
	v_cndmask_b32_e32 v15, v15, v6, vcc
	v_cmp_eq_u32_e32 vcc, 0, v13
	v_cndmask_b32_e64 v7, v7, v6, s[28:29]
	v_cndmask_b32_e64 v14, v16, v6, s[26:27]
	v_cndmask_b32_e32 v0, v0, v6, vcc
	v_cmp_eq_u32_e32 vcc, 1, v12
	v_cndmask_b32_e64 v16, v22, v6, s[24:25]
	v_cndmask_b32_e64 v3, v3, v6, s[22:23]
	v_cndmask_b32_e64 v22, v23, v6, s[20:21]
	v_cndmask_b32_e64 v21, v21, v6, s[18:19]
	v_cndmask_b32_e64 v20, v20, v6, s[16:17]
	v_cndmask_b32_e64 v2, v2, v6, s[14:15]
	v_cndmask_b32_e64 v19, v19, v6, s[12:13]
	v_cndmask_b32_e64 v18, v18, v6, s[10:11]
	v_cndmask_b32_e64 v17, v17, v6, s[8:9]
	v_cndmask_b32_e64 v1, v1, v6, s[6:7]
	v_cndmask_b32_e64 v4, v4, v6, s[4:5]
	v_cndmask_b32_e64 v5, v5, v6, s[2:3]
	v_cndmask_b32_e32 v6, v0, v15, vcc
	v_cmp_eq_u32_e64 s[2:3], 2, v12
	v_cmp_eq_u32_e64 s[4:5], 3, v12
	v_cmp_eq_u32_e64 s[6:7], 4, v12
	v_cndmask_b32_e64 v6, v6, v5, s[2:3]
	v_cndmask_b32_e64 v6, v6, v4, s[4:5]
	v_cndmask_b32_e64 v6, v6, v1, s[6:7]
	v_cmp_eq_u32_e64 s[8:9], 5, v12
	v_cmp_eq_u32_e64 s[10:11], 6, v12
	v_cmp_eq_u32_e64 s[12:13], 7, v12
	v_cndmask_b32_e64 v6, v6, v17, s[8:9]
	v_cndmask_b32_e64 v6, v6, v18, s[10:11]
	v_cndmask_b32_e64 v6, v6, v19, s[12:13]
	;; [unrolled: 6-line block ×4, first 2 shown]
	v_cmp_eq_u32_e64 s[26:27], 14, v12
	v_cmp_eq_u32_e64 s[28:29], 15, v12
	s_nop 0
	v_cndmask_b32_e64 v6, v6, v14, s[26:27]
	v_cndmask_b32_e64 v6, v6, v7, s[28:29]
	v_and_b32_e32 v6, 0xff, v6
	ds_swizzle_b32 v6, v6 offset:swizzle(SWAP,8)
	s_waitcnt lgkmcnt(0)
	v_cndmask_b32_e32 v15, v15, v6, vcc
	v_cmp_eq_u32_e32 vcc, 0, v12
	v_cndmask_b32_e64 v7, v7, v6, s[28:29]
	v_cndmask_b32_e64 v13, v14, v6, s[26:27]
	;; [unrolled: 1-line block ×14, first 2 shown]
	v_cndmask_b32_e32 v0, v0, v6, vcc
	v_xor_b32_e32 v6, 4, v11
	v_cmp_eq_u32_e32 vcc, 1, v6
	v_cmp_eq_u32_e64 s[2:3], 2, v6
	v_cmp_eq_u32_e64 s[4:5], 3, v6
	v_cndmask_b32_e32 v12, v0, v15, vcc
	v_cndmask_b32_e64 v12, v12, v5, s[2:3]
	v_cndmask_b32_e64 v12, v12, v4, s[4:5]
	v_cmp_eq_u32_e64 s[6:7], 4, v6
	v_cmp_eq_u32_e64 s[8:9], 5, v6
	v_cmp_eq_u32_e64 s[10:11], 6, v6
	v_cndmask_b32_e64 v12, v12, v1, s[6:7]
	v_cndmask_b32_e64 v12, v12, v17, s[8:9]
	v_cndmask_b32_e64 v12, v12, v18, s[10:11]
	v_cmp_eq_u32_e64 s[12:13], 7, v6
	v_cmp_eq_u32_e64 s[14:15], 8, v6
	v_cmp_eq_u32_e64 s[16:17], 9, v6
	v_cndmask_b32_e64 v12, v12, v19, s[12:13]
	;; [unrolled: 6-line block ×4, first 2 shown]
	v_cndmask_b32_e64 v12, v12, v13, s[26:27]
	v_cndmask_b32_e64 v12, v12, v7, s[28:29]
	v_and_b32_e32 v12, 0xff, v12
	ds_swizzle_b32 v12, v12 offset:swizzle(SWAP,4)
	s_waitcnt lgkmcnt(0)
	v_cndmask_b32_e32 v15, v15, v12, vcc
	v_cmp_eq_u32_e32 vcc, 0, v6
	v_cndmask_b32_e64 v5, v5, v12, s[2:3]
	v_cndmask_b32_e64 v4, v4, v12, s[4:5]
	v_cndmask_b32_e32 v0, v0, v12, vcc
	v_cmp_eq_u32_e32 vcc, 0, v11
	v_cndmask_b32_e64 v6, v0, v15, s[0:1]
	v_cndmask_b32_e64 v1, v1, v12, s[6:7]
	v_cndmask_b32_e64 v11, 1, 5, vcc
	v_cmp_eq_u32_e64 s[2:3], 2, v11
	v_cmp_eq_u32_e64 s[4:5], 3, v11
	;; [unrolled: 1-line block ×3, first 2 shown]
	v_cndmask_b32_e64 v6, v6, v5, s[2:3]
	v_cndmask_b32_e64 v6, v6, v4, s[4:5]
	;; [unrolled: 1-line block ×5, first 2 shown]
	v_cndmask_b32_e32 v6, v6, v17, vcc
	v_cmp_eq_u32_e64 s[8:9], 6, v11
	v_cndmask_b32_e64 v19, v19, v12, s[12:13]
	v_cmp_eq_u32_e64 s[10:11], 7, v11
	v_cndmask_b32_e64 v6, v6, v18, s[8:9]
	v_cndmask_b32_e64 v2, v2, v12, s[14:15]
	v_cndmask_b32_e64 v6, v6, v19, s[10:11]
	v_cmp_eq_u32_e64 s[12:13], 8, v11
	v_cndmask_b32_e64 v20, v20, v12, s[16:17]
	v_cmp_eq_u32_e64 s[14:15], 9, v11
	v_cndmask_b32_e64 v6, v6, v2, s[12:13]
	v_cndmask_b32_e64 v21, v21, v12, s[18:19]
	v_cndmask_b32_e64 v6, v6, v20, s[14:15]
	v_cmp_eq_u32_e64 s[16:17], 10, v11
	v_cndmask_b32_e64 v16, v16, v12, s[20:21]
	v_cmp_eq_u32_e64 s[18:19], 11, v11
	v_cndmask_b32_e64 v6, v6, v21, s[16:17]
	v_cndmask_b32_e64 v3, v3, v12, s[22:23]
	v_cndmask_b32_e64 v6, v6, v16, s[18:19]
	v_cmp_eq_u32_e64 s[20:21], 12, v11
	v_cndmask_b32_e64 v14, v14, v12, s[24:25]
	v_cmp_eq_u32_e64 s[22:23], 13, v11
	v_cndmask_b32_e64 v6, v6, v3, s[20:21]
	v_cndmask_b32_e64 v13, v13, v12, s[26:27]
	v_cndmask_b32_e64 v6, v6, v14, s[22:23]
	v_cmp_eq_u32_e64 s[24:25], 14, v11
	v_cndmask_b32_e64 v7, v7, v12, s[28:29]
	v_cmp_eq_u32_e64 s[26:27], 15, v11
	v_cndmask_b32_e64 v6, v6, v13, s[24:25]
	s_nop 0
	v_cndmask_b32_e64 v6, v6, v7, s[26:27]
	v_and_b32_e32 v6, 0xff, v6
	ds_swizzle_b32 v6, v6 offset:swizzle(SWAP,4)
	s_waitcnt lgkmcnt(0)
	v_cndmask_b32_e64 v5, v5, v6, s[2:3]
	v_cmp_eq_u32_e64 s[2:3], 0, v11
	v_cndmask_b32_e64 v7, v7, v6, s[26:27]
	v_cndmask_b32_e64 v12, v13, v6, s[24:25]
	;; [unrolled: 1-line block ×10, first 2 shown]
	v_cndmask_b32_e32 v17, v17, v6, vcc
	v_cndmask_b32_e64 v1, v1, v6, s[6:7]
	v_cndmask_b32_e64 v4, v4, v6, s[4:5]
	;; [unrolled: 1-line block ×4, first 2 shown]
	v_cndmask_b32_e64 v6, 2, 6, vcc
	v_cmp_eq_u32_e64 s[2:3], 1, v6
	v_cmp_eq_u32_e64 s[4:5], 3, v6
	;; [unrolled: 1-line block ×3, first 2 shown]
	v_cndmask_b32_e64 v11, v0, v15, s[2:3]
	v_cndmask_b32_e64 v11, v11, v5, s[0:1]
	v_cndmask_b32_e64 v11, v11, v4, s[4:5]
	v_cndmask_b32_e64 v11, v11, v1, s[6:7]
	v_cmp_eq_u32_e64 s[8:9], 5, v6
	v_cmp_eq_u32_e64 s[10:11], 7, v6
	;; [unrolled: 1-line block ×3, first 2 shown]
	v_cndmask_b32_e64 v11, v11, v17, s[8:9]
	v_cndmask_b32_e32 v11, v11, v18, vcc
	v_cndmask_b32_e64 v11, v11, v19, s[10:11]
	v_cndmask_b32_e64 v11, v11, v2, s[12:13]
	v_cmp_eq_u32_e64 s[14:15], 9, v6
	v_cmp_eq_u32_e64 s[16:17], 10, v6
	v_cmp_eq_u32_e64 s[18:19], 11, v6
	v_cndmask_b32_e64 v11, v11, v20, s[14:15]
	v_cndmask_b32_e64 v11, v11, v16, s[16:17]
	;; [unrolled: 1-line block ×3, first 2 shown]
	v_cmp_eq_u32_e64 s[20:21], 12, v6
	v_cmp_eq_u32_e64 s[22:23], 13, v6
	v_cmp_eq_u32_e64 s[24:25], 14, v6
	v_cndmask_b32_e64 v11, v11, v3, s[20:21]
	v_cndmask_b32_e64 v11, v11, v13, s[22:23]
	;; [unrolled: 1-line block ×3, first 2 shown]
	v_cmp_eq_u32_e64 s[26:27], 15, v6
	s_nop 1
	v_cndmask_b32_e64 v11, v11, v7, s[26:27]
	v_and_b32_e32 v11, 0xff, v11
	ds_swizzle_b32 v11, v11 offset:swizzle(SWAP,4)
	s_waitcnt lgkmcnt(0)
	v_cndmask_b32_e64 v15, v15, v11, s[2:3]
	v_cmp_eq_u32_e64 s[2:3], 0, v6
	v_cndmask_b32_e64 v6, 3, 7, vcc
	v_cndmask_b32_e64 v7, v7, v11, s[26:27]
	v_cndmask_b32_e64 v0, v0, v11, s[2:3]
	v_cmp_eq_u32_e64 s[2:3], 1, v6
	v_cndmask_b32_e64 v12, v12, v11, s[24:25]
	v_cndmask_b32_e64 v13, v13, v11, s[22:23]
	v_cndmask_b32_e64 v3, v3, v11, s[20:21]
	v_cndmask_b32_e64 v14, v14, v11, s[18:19]
	v_cndmask_b32_e64 v16, v16, v11, s[16:17]
	v_cndmask_b32_e64 v20, v20, v11, s[14:15]
	v_cndmask_b32_e64 v2, v2, v11, s[12:13]
	v_cndmask_b32_e64 v19, v19, v11, s[10:11]
	v_cndmask_b32_e32 v18, v18, v11, vcc
	v_cndmask_b32_e64 v17, v17, v11, s[8:9]
	v_cndmask_b32_e64 v1, v1, v11, s[6:7]
	;; [unrolled: 1-line block ×5, first 2 shown]
	v_cmp_eq_u32_e64 s[4:5], 2, v6
	v_cmp_eq_u32_e64 s[6:7], 4, v6
	;; [unrolled: 1-line block ×3, first 2 shown]
	v_cndmask_b32_e64 v11, v11, v5, s[4:5]
	v_cndmask_b32_e64 v11, v11, v4, s[0:1]
	;; [unrolled: 1-line block ×4, first 2 shown]
	v_cmp_eq_u32_e64 s[10:11], 6, v6
	v_cmp_eq_u32_e64 s[12:13], 8, v6
	;; [unrolled: 1-line block ×3, first 2 shown]
	v_cndmask_b32_e64 v11, v11, v18, s[10:11]
	v_cndmask_b32_e32 v11, v11, v19, vcc
	v_cndmask_b32_e64 v11, v11, v2, s[12:13]
	v_cndmask_b32_e64 v11, v11, v20, s[14:15]
	v_cmp_eq_u32_e64 s[16:17], 10, v6
	v_cmp_eq_u32_e64 s[18:19], 11, v6
	;; [unrolled: 1-line block ×3, first 2 shown]
	v_cndmask_b32_e64 v11, v11, v16, s[16:17]
	v_cndmask_b32_e64 v11, v11, v14, s[18:19]
	;; [unrolled: 1-line block ×3, first 2 shown]
	v_cmp_eq_u32_e64 s[22:23], 13, v6
	v_cmp_eq_u32_e64 s[24:25], 14, v6
	;; [unrolled: 1-line block ×3, first 2 shown]
	v_cndmask_b32_e64 v11, v11, v13, s[22:23]
	v_cndmask_b32_e64 v11, v11, v12, s[24:25]
	;; [unrolled: 1-line block ×3, first 2 shown]
	v_and_b32_e32 v11, 0xff, v11
	ds_swizzle_b32 v11, v11 offset:swizzle(SWAP,4)
	s_waitcnt lgkmcnt(0)
	v_cndmask_b32_e64 v15, v15, v11, s[2:3]
	v_cmp_eq_u32_e64 s[2:3], 0, v6
	v_cndmask_b32_e64 v6, 8, 12, vcc
	v_cndmask_b32_e64 v7, v7, v11, s[26:27]
	v_cndmask_b32_e64 v0, v0, v11, s[2:3]
	v_cmp_eq_u32_e64 s[2:3], 1, v6
	v_cndmask_b32_e64 v12, v12, v11, s[24:25]
	v_cndmask_b32_e64 v13, v13, v11, s[22:23]
	;; [unrolled: 1-line block ×7, first 2 shown]
	v_cndmask_b32_e32 v19, v19, v11, vcc
	v_cndmask_b32_e64 v18, v18, v11, s[10:11]
	v_cndmask_b32_e64 v17, v17, v11, s[8:9]
	;; [unrolled: 1-line block ×6, first 2 shown]
	v_cmp_eq_u32_e64 s[4:5], 2, v6
	v_cmp_eq_u32_e64 s[6:7], 3, v6
	v_cmp_eq_u32_e64 s[8:9], 4, v6
	v_cndmask_b32_e64 v11, v11, v5, s[4:5]
	v_cndmask_b32_e64 v11, v11, v4, s[6:7]
	;; [unrolled: 1-line block ×3, first 2 shown]
	v_cmp_eq_u32_e64 s[10:11], 5, v6
	v_cmp_eq_u32_e64 s[12:13], 6, v6
	;; [unrolled: 1-line block ×3, first 2 shown]
	v_cndmask_b32_e64 v11, v11, v17, s[10:11]
	v_cndmask_b32_e64 v11, v11, v18, s[12:13]
	;; [unrolled: 1-line block ×4, first 2 shown]
	v_cmp_eq_u32_e64 s[16:17], 9, v6
	v_cmp_eq_u32_e64 s[18:19], 10, v6
	;; [unrolled: 1-line block ×3, first 2 shown]
	v_cndmask_b32_e64 v11, v11, v20, s[16:17]
	v_cndmask_b32_e64 v11, v11, v16, s[18:19]
	;; [unrolled: 1-line block ×3, first 2 shown]
	v_cndmask_b32_e32 v11, v11, v3, vcc
	v_cmp_eq_u32_e64 s[22:23], 13, v6
	v_cmp_eq_u32_e64 s[24:25], 14, v6
	;; [unrolled: 1-line block ×3, first 2 shown]
	v_cndmask_b32_e64 v11, v11, v13, s[22:23]
	v_cndmask_b32_e64 v11, v11, v12, s[24:25]
	;; [unrolled: 1-line block ×3, first 2 shown]
	v_and_b32_e32 v11, 0xff, v11
	ds_swizzle_b32 v11, v11 offset:swizzle(SWAP,4)
	s_waitcnt lgkmcnt(0)
	v_cndmask_b32_e64 v15, v15, v11, s[2:3]
	v_cmp_eq_u32_e64 s[2:3], 0, v6
	v_cndmask_b32_e64 v6, 9, 13, vcc
	v_cndmask_b32_e64 v7, v7, v11, s[26:27]
	v_cndmask_b32_e64 v0, v0, v11, s[2:3]
	v_cmp_eq_u32_e64 s[2:3], 1, v6
	v_cndmask_b32_e64 v12, v12, v11, s[24:25]
	v_cndmask_b32_e64 v13, v13, v11, s[22:23]
	v_cndmask_b32_e32 v3, v3, v11, vcc
	v_cndmask_b32_e64 v14, v14, v11, s[20:21]
	v_cndmask_b32_e64 v16, v16, v11, s[18:19]
	;; [unrolled: 1-line block ×11, first 2 shown]
	v_cmp_eq_u32_e64 s[4:5], 2, v6
	v_cmp_eq_u32_e64 s[6:7], 3, v6
	v_cmp_eq_u32_e64 s[8:9], 4, v6
	v_cndmask_b32_e64 v11, v11, v5, s[4:5]
	v_cndmask_b32_e64 v11, v11, v4, s[6:7]
	v_cndmask_b32_e64 v11, v11, v1, s[8:9]
	v_cmp_eq_u32_e64 s[10:11], 5, v6
	v_cmp_eq_u32_e64 s[12:13], 6, v6
	v_cmp_eq_u32_e64 s[14:15], 7, v6
	v_cndmask_b32_e64 v11, v11, v17, s[10:11]
	v_cndmask_b32_e64 v11, v11, v18, s[12:13]
	v_cndmask_b32_e64 v11, v11, v19, s[14:15]
	;; [unrolled: 6-line block ×3, first 2 shown]
	v_cndmask_b32_e64 v11, v11, v14, s[20:21]
	v_cmp_eq_u32_e64 s[22:23], 12, v6
	v_cmp_eq_u32_e64 s[24:25], 14, v6
	;; [unrolled: 1-line block ×3, first 2 shown]
	v_cndmask_b32_e64 v11, v11, v3, s[22:23]
	v_cndmask_b32_e32 v11, v11, v13, vcc
	v_cndmask_b32_e64 v11, v11, v12, s[24:25]
	v_cndmask_b32_e64 v11, v11, v7, s[26:27]
	v_and_b32_e32 v11, 0xff, v11
	ds_swizzle_b32 v11, v11 offset:swizzle(SWAP,4)
	s_waitcnt lgkmcnt(0)
	v_cndmask_b32_e64 v15, v15, v11, s[2:3]
	v_cmp_eq_u32_e64 s[2:3], 0, v6
	v_cndmask_b32_e64 v6, 10, 14, vcc
	v_cndmask_b32_e64 v7, v7, v11, s[26:27]
	v_cndmask_b32_e64 v0, v0, v11, s[2:3]
	v_cmp_eq_u32_e64 s[2:3], 1, v6
	v_cndmask_b32_e64 v12, v12, v11, s[24:25]
	v_cndmask_b32_e32 v13, v13, v11, vcc
	v_cndmask_b32_e64 v3, v3, v11, s[22:23]
	v_cndmask_b32_e64 v14, v14, v11, s[20:21]
	;; [unrolled: 1-line block ×12, first 2 shown]
	v_cmp_eq_u32_e64 s[4:5], 2, v6
	v_cmp_eq_u32_e64 s[6:7], 3, v6
	v_cmp_eq_u32_e64 s[8:9], 4, v6
	v_cndmask_b32_e64 v11, v11, v5, s[4:5]
	v_cndmask_b32_e64 v11, v11, v4, s[6:7]
	v_cndmask_b32_e64 v11, v11, v1, s[8:9]
	v_cmp_eq_u32_e64 s[10:11], 5, v6
	v_cmp_eq_u32_e64 s[12:13], 6, v6
	v_cmp_eq_u32_e64 s[14:15], 7, v6
	v_cndmask_b32_e64 v11, v11, v17, s[10:11]
	v_cndmask_b32_e64 v11, v11, v18, s[12:13]
	v_cndmask_b32_e64 v11, v11, v19, s[14:15]
	;; [unrolled: 6-line block ×3, first 2 shown]
	v_cndmask_b32_e64 v11, v11, v14, s[20:21]
	v_cmp_eq_u32_e64 s[22:23], 12, v6
	v_cmp_eq_u32_e64 s[24:25], 13, v6
	;; [unrolled: 1-line block ×3, first 2 shown]
	v_cndmask_b32_e64 v11, v11, v3, s[22:23]
	v_cndmask_b32_e64 v11, v11, v13, s[24:25]
	v_cndmask_b32_e32 v11, v11, v12, vcc
	v_cndmask_b32_e64 v11, v11, v7, s[26:27]
	v_and_b32_e32 v11, 0xff, v11
	ds_swizzle_b32 v11, v11 offset:swizzle(SWAP,4)
	s_waitcnt lgkmcnt(0)
	v_cndmask_b32_e64 v15, v15, v11, s[2:3]
	v_cmp_eq_u32_e64 s[2:3], 0, v6
	v_cndmask_b32_e64 v6, 11, 15, vcc
	v_cndmask_b32_e64 v7, v7, v11, s[26:27]
	v_cndmask_b32_e64 v0, v0, v11, s[2:3]
	v_cmp_eq_u32_e64 s[2:3], 1, v6
	v_cndmask_b32_e32 v12, v12, v11, vcc
	v_cndmask_b32_e64 v13, v13, v11, s[24:25]
	v_cndmask_b32_e64 v3, v3, v11, s[22:23]
	;; [unrolled: 1-line block ×13, first 2 shown]
	v_cmp_eq_u32_e64 s[4:5], 2, v6
	v_cmp_eq_u32_e64 s[6:7], 3, v6
	v_cmp_eq_u32_e64 s[8:9], 4, v6
	v_cndmask_b32_e64 v11, v11, v5, s[4:5]
	v_cndmask_b32_e64 v11, v11, v4, s[6:7]
	v_cndmask_b32_e64 v11, v11, v1, s[8:9]
	v_cmp_eq_u32_e64 s[10:11], 5, v6
	v_cmp_eq_u32_e64 s[12:13], 6, v6
	v_cmp_eq_u32_e64 s[14:15], 7, v6
	v_cndmask_b32_e64 v11, v11, v17, s[10:11]
	v_cndmask_b32_e64 v11, v11, v18, s[12:13]
	v_cndmask_b32_e64 v11, v11, v19, s[14:15]
	;; [unrolled: 6-line block ×3, first 2 shown]
	v_cndmask_b32_e64 v11, v11, v14, s[0:1]
	v_cmp_eq_u32_e64 s[22:23], 12, v6
	v_cmp_eq_u32_e64 s[24:25], 13, v6
	;; [unrolled: 1-line block ×3, first 2 shown]
	v_cndmask_b32_e64 v11, v11, v3, s[22:23]
	v_cndmask_b32_e64 v11, v11, v13, s[24:25]
	;; [unrolled: 1-line block ×3, first 2 shown]
	v_cndmask_b32_e32 v11, v11, v7, vcc
	v_and_b32_e32 v11, 0xff, v11
	ds_swizzle_b32 v11, v11 offset:swizzle(SWAP,4)
	s_waitcnt lgkmcnt(0)
	v_cndmask_b32_e32 v7, v7, v11, vcc
	v_cmp_eq_u32_e32 vcc, 0, v6
	v_and_b32_e32 v6, 2, v10
	v_cndmask_b32_e64 v12, v12, v11, s[26:27]
	v_cndmask_b32_e64 v13, v13, v11, s[24:25]
	;; [unrolled: 1-line block ×14, first 2 shown]
	v_cndmask_b32_e32 v0, v0, v11, vcc
	v_xor_b32_e32 v11, 2, v6
	v_cmp_eq_u32_e32 vcc, 1, v11
	v_cmp_eq_u32_e64 s[0:1], 2, v11
	v_cmp_eq_u32_e64 s[2:3], 3, v11
	v_cndmask_b32_e32 v21, v0, v15, vcc
	v_cndmask_b32_e64 v21, v21, v5, s[0:1]
	v_cndmask_b32_e64 v21, v21, v4, s[2:3]
	v_cmp_eq_u32_e64 s[4:5], 4, v11
	v_cmp_eq_u32_e64 s[6:7], 5, v11
	v_cmp_eq_u32_e64 s[8:9], 6, v11
	v_cndmask_b32_e64 v21, v21, v1, s[4:5]
	v_cndmask_b32_e64 v21, v21, v17, s[6:7]
	v_cndmask_b32_e64 v21, v21, v18, s[8:9]
	v_cmp_eq_u32_e64 s[10:11], 7, v11
	v_cmp_eq_u32_e64 s[12:13], 8, v11
	v_cmp_eq_u32_e64 s[14:15], 9, v11
	v_cndmask_b32_e64 v21, v21, v19, s[10:11]
	;; [unrolled: 6-line block ×4, first 2 shown]
	v_cndmask_b32_e64 v21, v21, v12, s[24:25]
	v_cndmask_b32_e64 v21, v21, v7, s[26:27]
	v_and_b32_e32 v21, 0xff, v21
	ds_swizzle_b32 v21, v21 offset:swizzle(SWAP,2)
	v_and_b32_e32 v10, 1, v10
	s_waitcnt lgkmcnt(0)
	v_cndmask_b32_e64 v5, v5, v21, s[0:1]
	v_cndmask_b32_e32 v15, v15, v21, vcc
	v_cmp_eq_u32_e32 vcc, 0, v11
	v_cmp_eq_u32_e64 s[0:1], 0, v6
	v_cndmask_b32_e64 v4, v4, v21, s[2:3]
	v_cndmask_b32_e32 v0, v0, v21, vcc
	v_cmp_ne_u32_e32 vcc, 0, v6
	v_cndmask_b32_e64 v6, 1, 3, s[0:1]
	v_cmp_eq_u32_e64 s[2:3], 2, v6
	v_cndmask_b32_e32 v11, v0, v15, vcc
	v_cndmask_b32_e64 v1, v1, v21, s[4:5]
	v_cndmask_b32_e64 v11, v11, v5, s[2:3]
	v_cndmask_b32_e64 v11, v11, v4, s[0:1]
	v_cmp_eq_u32_e64 s[4:5], 4, v6
	v_cndmask_b32_e64 v17, v17, v21, s[6:7]
	v_cmp_eq_u32_e64 s[6:7], 5, v6
	v_cndmask_b32_e64 v11, v11, v1, s[4:5]
	v_cndmask_b32_e64 v18, v18, v21, s[8:9]
	v_cndmask_b32_e64 v11, v11, v17, s[6:7]
	v_cmp_eq_u32_e64 s[8:9], 6, v6
	v_cndmask_b32_e64 v19, v19, v21, s[10:11]
	v_cmp_eq_u32_e64 s[10:11], 7, v6
	;; [unrolled: 6-line block ×6, first 2 shown]
	v_cndmask_b32_e64 v11, v11, v12, s[24:25]
	s_nop 0
	v_cndmask_b32_e64 v11, v11, v7, s[26:27]
	v_and_b32_e32 v11, 0xff, v11
	ds_swizzle_b32 v11, v11 offset:swizzle(SWAP,2)
	s_waitcnt lgkmcnt(0)
	v_cndmask_b32_e64 v5, v5, v11, s[2:3]
	v_cmp_eq_u32_e64 s[2:3], 0, v6
	v_cndmask_b32_e64 v6, 4, 6, s[0:1]
	v_cndmask_b32_e32 v15, v15, v11, vcc
	v_cndmask_b32_e64 v0, v0, v11, s[2:3]
	v_cmp_eq_u32_e64 s[2:3], 1, v6
	v_cndmask_b32_e64 v7, v7, v11, s[26:27]
	v_cndmask_b32_e64 v12, v12, v11, s[24:25]
	;; [unrolled: 1-line block ×14, first 2 shown]
	v_cmp_eq_u32_e64 s[4:5], 2, v6
	v_cmp_eq_u32_e64 s[6:7], 3, v6
	v_cmp_eq_u32_e64 s[8:9], 5, v6
	v_cndmask_b32_e64 v11, v11, v5, s[4:5]
	v_cndmask_b32_e64 v11, v11, v4, s[6:7]
	v_cndmask_b32_e32 v11, v11, v1, vcc
	v_cndmask_b32_e64 v11, v11, v17, s[8:9]
	v_cndmask_b32_e64 v11, v11, v18, s[0:1]
	v_cmp_eq_u32_e64 s[10:11], 7, v6
	v_cmp_eq_u32_e64 s[12:13], 8, v6
	v_cmp_eq_u32_e64 s[14:15], 9, v6
	v_cndmask_b32_e64 v11, v11, v19, s[10:11]
	v_cndmask_b32_e64 v11, v11, v2, s[12:13]
	v_cndmask_b32_e64 v11, v11, v20, s[14:15]
	v_cmp_eq_u32_e64 s[16:17], 10, v6
	v_cmp_eq_u32_e64 s[18:19], 11, v6
	v_cmp_eq_u32_e64 s[20:21], 12, v6
	v_cndmask_b32_e64 v11, v11, v16, s[16:17]
	;; [unrolled: 6-line block ×3, first 2 shown]
	v_cndmask_b32_e64 v11, v11, v12, s[24:25]
	v_cndmask_b32_e64 v11, v11, v7, s[26:27]
	v_and_b32_e32 v11, 0xff, v11
	ds_swizzle_b32 v11, v11 offset:swizzle(SWAP,2)
	s_waitcnt lgkmcnt(0)
	v_cndmask_b32_e64 v15, v15, v11, s[2:3]
	v_cmp_eq_u32_e64 s[2:3], 0, v6
	v_cndmask_b32_e64 v6, 5, 7, s[0:1]
	v_cndmask_b32_e64 v7, v7, v11, s[26:27]
	;; [unrolled: 1-line block ×3, first 2 shown]
	v_cmp_eq_u32_e64 s[2:3], 1, v6
	v_cndmask_b32_e64 v12, v12, v11, s[24:25]
	v_cndmask_b32_e64 v13, v13, v11, s[22:23]
	;; [unrolled: 1-line block ×10, first 2 shown]
	v_cndmask_b32_e32 v1, v1, v11, vcc
	v_cndmask_b32_e64 v4, v4, v11, s[6:7]
	v_cndmask_b32_e64 v5, v5, v11, s[4:5]
	;; [unrolled: 1-line block ×3, first 2 shown]
	v_cmp_eq_u32_e64 s[4:5], 2, v6
	v_cmp_eq_u32_e64 s[6:7], 3, v6
	;; [unrolled: 1-line block ×3, first 2 shown]
	v_cndmask_b32_e64 v11, v11, v5, s[4:5]
	v_cndmask_b32_e64 v11, v11, v4, s[6:7]
	;; [unrolled: 1-line block ×3, first 2 shown]
	v_cndmask_b32_e32 v11, v11, v17, vcc
	v_cmp_eq_u32_e64 s[10:11], 6, v6
	v_cmp_eq_u32_e64 s[12:13], 8, v6
	;; [unrolled: 1-line block ×3, first 2 shown]
	v_cndmask_b32_e64 v11, v11, v18, s[10:11]
	v_cndmask_b32_e64 v11, v11, v19, s[0:1]
	;; [unrolled: 1-line block ×4, first 2 shown]
	v_cmp_eq_u32_e64 s[16:17], 10, v6
	v_cmp_eq_u32_e64 s[18:19], 11, v6
	;; [unrolled: 1-line block ×3, first 2 shown]
	v_cndmask_b32_e64 v11, v11, v16, s[16:17]
	v_cndmask_b32_e64 v11, v11, v14, s[18:19]
	;; [unrolled: 1-line block ×3, first 2 shown]
	v_cmp_eq_u32_e64 s[22:23], 13, v6
	v_cmp_eq_u32_e64 s[24:25], 14, v6
	;; [unrolled: 1-line block ×3, first 2 shown]
	v_cndmask_b32_e64 v11, v11, v13, s[22:23]
	v_cndmask_b32_e64 v11, v11, v12, s[24:25]
	;; [unrolled: 1-line block ×3, first 2 shown]
	v_and_b32_e32 v11, 0xff, v11
	ds_swizzle_b32 v11, v11 offset:swizzle(SWAP,2)
	s_waitcnt lgkmcnt(0)
	v_cndmask_b32_e64 v15, v15, v11, s[2:3]
	v_cmp_eq_u32_e64 s[2:3], 0, v6
	v_cndmask_b32_e64 v6, 8, 10, s[0:1]
	v_cndmask_b32_e64 v7, v7, v11, s[26:27]
	;; [unrolled: 1-line block ×3, first 2 shown]
	v_cmp_eq_u32_e64 s[2:3], 1, v6
	v_cndmask_b32_e64 v12, v12, v11, s[24:25]
	v_cndmask_b32_e64 v13, v13, v11, s[22:23]
	;; [unrolled: 1-line block ×9, first 2 shown]
	v_cndmask_b32_e32 v17, v17, v11, vcc
	v_cndmask_b32_e64 v1, v1, v11, s[8:9]
	v_cndmask_b32_e64 v4, v4, v11, s[6:7]
	;; [unrolled: 1-line block ×4, first 2 shown]
	v_cmp_eq_u32_e64 s[4:5], 2, v6
	v_cmp_eq_u32_e64 s[6:7], 3, v6
	;; [unrolled: 1-line block ×3, first 2 shown]
	v_cndmask_b32_e64 v11, v11, v5, s[4:5]
	v_cndmask_b32_e64 v11, v11, v4, s[6:7]
	;; [unrolled: 1-line block ×3, first 2 shown]
	v_cmp_eq_u32_e64 s[10:11], 5, v6
	v_cmp_eq_u32_e64 s[12:13], 6, v6
	;; [unrolled: 1-line block ×3, first 2 shown]
	v_cndmask_b32_e64 v11, v11, v17, s[10:11]
	v_cndmask_b32_e64 v11, v11, v18, s[12:13]
	;; [unrolled: 1-line block ×3, first 2 shown]
	v_cndmask_b32_e32 v11, v11, v2, vcc
	v_cmp_eq_u32_e64 s[16:17], 9, v6
	v_cmp_eq_u32_e64 s[18:19], 11, v6
	;; [unrolled: 1-line block ×3, first 2 shown]
	v_cndmask_b32_e64 v11, v11, v20, s[16:17]
	v_cndmask_b32_e64 v11, v11, v16, s[0:1]
	;; [unrolled: 1-line block ×4, first 2 shown]
	v_cmp_eq_u32_e64 s[22:23], 13, v6
	v_cmp_eq_u32_e64 s[24:25], 14, v6
	;; [unrolled: 1-line block ×3, first 2 shown]
	v_cndmask_b32_e64 v11, v11, v13, s[22:23]
	v_cndmask_b32_e64 v11, v11, v12, s[24:25]
	;; [unrolled: 1-line block ×3, first 2 shown]
	v_and_b32_e32 v11, 0xff, v11
	ds_swizzle_b32 v11, v11 offset:swizzle(SWAP,2)
	s_waitcnt lgkmcnt(0)
	v_cndmask_b32_e64 v15, v15, v11, s[2:3]
	v_cmp_eq_u32_e64 s[2:3], 0, v6
	v_cndmask_b32_e64 v6, 9, 11, s[0:1]
	v_cndmask_b32_e64 v7, v7, v11, s[26:27]
	;; [unrolled: 1-line block ×3, first 2 shown]
	v_cmp_eq_u32_e64 s[2:3], 1, v6
	v_cndmask_b32_e64 v12, v12, v11, s[24:25]
	v_cndmask_b32_e64 v13, v13, v11, s[22:23]
	;; [unrolled: 1-line block ×6, first 2 shown]
	v_cndmask_b32_e32 v2, v2, v11, vcc
	v_cndmask_b32_e64 v19, v19, v11, s[14:15]
	v_cndmask_b32_e64 v18, v18, v11, s[12:13]
	;; [unrolled: 1-line block ×7, first 2 shown]
	v_cmp_eq_u32_e64 s[4:5], 2, v6
	v_cmp_eq_u32_e64 s[6:7], 3, v6
	;; [unrolled: 1-line block ×3, first 2 shown]
	v_cndmask_b32_e64 v11, v11, v5, s[4:5]
	v_cndmask_b32_e64 v11, v11, v4, s[6:7]
	;; [unrolled: 1-line block ×3, first 2 shown]
	v_cmp_eq_u32_e64 s[10:11], 5, v6
	v_cmp_eq_u32_e64 s[12:13], 6, v6
	;; [unrolled: 1-line block ×3, first 2 shown]
	v_cndmask_b32_e64 v11, v11, v17, s[10:11]
	v_cndmask_b32_e64 v11, v11, v18, s[12:13]
	;; [unrolled: 1-line block ×3, first 2 shown]
	v_cmp_eq_u32_e64 s[16:17], 8, v6
	v_cmp_eq_u32_e64 s[18:19], 10, v6
	;; [unrolled: 1-line block ×3, first 2 shown]
	v_cndmask_b32_e64 v11, v11, v2, s[16:17]
	v_cndmask_b32_e32 v11, v11, v20, vcc
	v_cndmask_b32_e64 v11, v11, v16, s[18:19]
	v_cndmask_b32_e64 v11, v11, v14, s[0:1]
	;; [unrolled: 1-line block ×3, first 2 shown]
	v_cmp_eq_u32_e64 s[22:23], 13, v6
	v_cmp_eq_u32_e64 s[24:25], 14, v6
	;; [unrolled: 1-line block ×3, first 2 shown]
	v_cndmask_b32_e64 v11, v11, v13, s[22:23]
	v_cndmask_b32_e64 v11, v11, v12, s[24:25]
	;; [unrolled: 1-line block ×3, first 2 shown]
	v_and_b32_e32 v11, 0xff, v11
	ds_swizzle_b32 v11, v11 offset:swizzle(SWAP,2)
	s_waitcnt lgkmcnt(0)
	v_cndmask_b32_e64 v15, v15, v11, s[2:3]
	v_cmp_eq_u32_e64 s[2:3], 0, v6
	v_cndmask_b32_e64 v6, 12, 14, s[0:1]
	v_cndmask_b32_e64 v7, v7, v11, s[26:27]
	;; [unrolled: 1-line block ×3, first 2 shown]
	v_cmp_eq_u32_e64 s[2:3], 1, v6
	v_cndmask_b32_e64 v12, v12, v11, s[24:25]
	v_cndmask_b32_e64 v13, v13, v11, s[22:23]
	;; [unrolled: 1-line block ×5, first 2 shown]
	v_cndmask_b32_e32 v20, v20, v11, vcc
	v_cndmask_b32_e64 v2, v2, v11, s[16:17]
	v_cndmask_b32_e64 v19, v19, v11, s[14:15]
	;; [unrolled: 1-line block ×8, first 2 shown]
	v_cmp_eq_u32_e64 s[4:5], 2, v6
	v_cmp_eq_u32_e64 s[6:7], 3, v6
	v_cmp_eq_u32_e64 s[8:9], 4, v6
	v_cndmask_b32_e64 v11, v11, v5, s[4:5]
	v_cndmask_b32_e64 v11, v11, v4, s[6:7]
	v_cndmask_b32_e64 v11, v11, v1, s[8:9]
	v_cmp_eq_u32_e64 s[10:11], 5, v6
	v_cmp_eq_u32_e64 s[12:13], 6, v6
	v_cmp_eq_u32_e64 s[14:15], 7, v6
	v_cndmask_b32_e64 v11, v11, v17, s[10:11]
	v_cndmask_b32_e64 v11, v11, v18, s[12:13]
	v_cndmask_b32_e64 v11, v11, v19, s[14:15]
	;; [unrolled: 6-line block ×3, first 2 shown]
	v_cmp_eq_u32_e64 s[22:23], 11, v6
	v_cmp_eq_u32_e64 s[24:25], 13, v6
	;; [unrolled: 1-line block ×3, first 2 shown]
	v_cndmask_b32_e64 v11, v11, v14, s[22:23]
	v_cndmask_b32_e32 v11, v11, v3, vcc
	v_cndmask_b32_e64 v11, v11, v13, s[24:25]
	v_cndmask_b32_e64 v11, v11, v12, s[0:1]
	;; [unrolled: 1-line block ×3, first 2 shown]
	v_and_b32_e32 v11, 0xff, v11
	ds_swizzle_b32 v11, v11 offset:swizzle(SWAP,2)
	s_waitcnt lgkmcnt(0)
	v_cndmask_b32_e64 v15, v15, v11, s[2:3]
	v_cmp_eq_u32_e64 s[2:3], 0, v6
	v_cndmask_b32_e64 v6, 13, 15, s[0:1]
	v_cndmask_b32_e64 v7, v7, v11, s[26:27]
	;; [unrolled: 1-line block ×3, first 2 shown]
	v_cmp_eq_u32_e64 s[2:3], 1, v6
	v_cndmask_b32_e64 v12, v12, v11, s[0:1]
	v_cndmask_b32_e64 v13, v13, v11, s[24:25]
	v_cndmask_b32_e32 v3, v3, v11, vcc
	v_cndmask_b32_e64 v14, v14, v11, s[22:23]
	v_cndmask_b32_e64 v16, v16, v11, s[20:21]
	;; [unrolled: 1-line block ×11, first 2 shown]
	v_cmp_eq_u32_e64 s[4:5], 2, v6
	v_cmp_eq_u32_e64 s[6:7], 3, v6
	v_cmp_eq_u32_e64 s[8:9], 4, v6
	v_cndmask_b32_e64 v11, v11, v5, s[4:5]
	v_cndmask_b32_e64 v11, v11, v4, s[6:7]
	v_cndmask_b32_e64 v11, v11, v1, s[8:9]
	v_cmp_eq_u32_e64 s[10:11], 5, v6
	v_cmp_eq_u32_e64 s[12:13], 6, v6
	v_cmp_eq_u32_e64 s[14:15], 7, v6
	v_cndmask_b32_e64 v11, v11, v17, s[10:11]
	v_cndmask_b32_e64 v11, v11, v18, s[12:13]
	v_cndmask_b32_e64 v11, v11, v19, s[14:15]
	;; [unrolled: 6-line block ×3, first 2 shown]
	v_cmp_eq_u32_e64 s[22:23], 11, v6
	v_cmp_eq_u32_e64 s[24:25], 12, v6
	;; [unrolled: 1-line block ×3, first 2 shown]
	v_cndmask_b32_e64 v11, v11, v14, s[22:23]
	v_cndmask_b32_e64 v11, v11, v3, s[24:25]
	v_cndmask_b32_e32 v11, v11, v13, vcc
	v_cndmask_b32_e64 v11, v11, v12, s[26:27]
	v_cndmask_b32_e64 v11, v11, v7, s[0:1]
	v_and_b32_e32 v11, 0xff, v11
	ds_swizzle_b32 v11, v11 offset:swizzle(SWAP,2)
	s_waitcnt lgkmcnt(0)
	v_cndmask_b32_e32 v13, v13, v11, vcc
	v_cmp_eq_u32_e32 vcc, 0, v6
	v_cndmask_b32_e64 v7, v7, v11, s[0:1]
	v_cndmask_b32_e64 v12, v12, v11, s[26:27]
	;; [unrolled: 1-line block ×13, first 2 shown]
	v_cndmask_b32_e32 v0, v0, v11, vcc
	v_cndmask_b32_e64 v6, v15, v11, s[2:3]
	v_xor_b32_e32 v11, 1, v10
	v_cmp_eq_u32_e32 vcc, 1, v10
	v_cmp_eq_u32_e64 s[0:1], 2, v11
	v_cmp_eq_u32_e64 s[2:3], 3, v11
	v_cndmask_b32_e32 v15, v6, v0, vcc
	v_cndmask_b32_e64 v15, v15, v5, s[0:1]
	v_cndmask_b32_e64 v15, v15, v4, s[2:3]
	v_cmp_eq_u32_e64 s[4:5], 4, v11
	v_cmp_eq_u32_e64 s[6:7], 5, v11
	v_cmp_eq_u32_e64 s[8:9], 6, v11
	v_cndmask_b32_e64 v15, v15, v1, s[4:5]
	v_cndmask_b32_e64 v15, v15, v17, s[6:7]
	v_cndmask_b32_e64 v15, v15, v18, s[8:9]
	v_cmp_eq_u32_e64 s[10:11], 7, v11
	v_cmp_eq_u32_e64 s[12:13], 8, v11
	v_cmp_eq_u32_e64 s[14:15], 9, v11
	v_cndmask_b32_e64 v15, v15, v19, s[10:11]
	;; [unrolled: 6-line block ×4, first 2 shown]
	v_cndmask_b32_e64 v15, v15, v12, s[24:25]
	v_cndmask_b32_e64 v11, v15, v7, s[26:27]
	v_and_b32_e32 v11, 0xff, v11
	ds_swizzle_b32 v11, v11 offset:swizzle(SWAP,1)
	s_waitcnt lgkmcnt(0)
	v_cndmask_b32_e64 v5, v5, v11, s[0:1]
	v_cmp_eq_u32_e64 s[0:1], 0, v10
	v_cndmask_b32_e64 v4, v4, v11, s[2:3]
	v_cndmask_b32_e32 v6, v11, v6, vcc
	v_cndmask_b32_e64 v10, 2, 3, s[0:1]
	v_cndmask_b32_e32 v0, v0, v11, vcc
	v_cmp_eq_u32_e64 s[2:3], 1, v10
	v_cndmask_b32_e64 v7, v7, v11, s[26:27]
	v_cndmask_b32_e64 v12, v12, v11, s[24:25]
	;; [unrolled: 1-line block ×13, first 2 shown]
	v_cndmask_b32_e32 v11, v11, v5, vcc
	v_cndmask_b32_e64 v11, v11, v4, s[0:1]
	v_cmp_eq_u32_e64 s[4:5], 4, v10
	v_cmp_eq_u32_e64 s[6:7], 5, v10
	v_cmp_eq_u32_e64 s[8:9], 6, v10
	v_cndmask_b32_e64 v11, v11, v1, s[4:5]
	v_cndmask_b32_e64 v11, v11, v17, s[6:7]
	v_cndmask_b32_e64 v11, v11, v18, s[8:9]
	v_cmp_eq_u32_e64 s[10:11], 7, v10
	v_cmp_eq_u32_e64 s[12:13], 8, v10
	v_cmp_eq_u32_e64 s[14:15], 9, v10
	v_cndmask_b32_e64 v11, v11, v19, s[10:11]
	v_cndmask_b32_e64 v11, v11, v2, s[12:13]
	;; [unrolled: 6-line block ×4, first 2 shown]
	v_cndmask_b32_e64 v11, v11, v7, s[26:27]
	v_and_b32_e32 v11, 0xff, v11
	ds_swizzle_b32 v11, v11 offset:swizzle(SWAP,1)
	s_waitcnt lgkmcnt(0)
	v_cndmask_b32_e64 v6, v6, v11, s[2:3]
	v_cmp_eq_u32_e64 s[2:3], 0, v10
	v_cndmask_b32_e64 v10, 4, 5, s[0:1]
	v_cndmask_b32_e64 v7, v7, v11, s[26:27]
	;; [unrolled: 1-line block ×3, first 2 shown]
	v_cmp_eq_u32_e64 s[2:3], 1, v10
	v_cndmask_b32_e64 v12, v12, v11, s[24:25]
	v_cndmask_b32_e64 v13, v13, v11, s[22:23]
	;; [unrolled: 1-line block ×12, first 2 shown]
	v_cndmask_b32_e32 v5, v5, v11, vcc
	v_cndmask_b32_e64 v11, v0, v6, s[2:3]
	v_cmp_eq_u32_e64 s[4:5], 2, v10
	v_cmp_eq_u32_e64 s[6:7], 3, v10
	;; [unrolled: 1-line block ×3, first 2 shown]
	v_cndmask_b32_e64 v11, v11, v5, s[4:5]
	v_cndmask_b32_e64 v11, v11, v4, s[6:7]
	v_cndmask_b32_e32 v11, v11, v1, vcc
	v_cndmask_b32_e64 v11, v11, v17, s[0:1]
	v_cndmask_b32_e64 v11, v11, v18, s[8:9]
	v_cmp_eq_u32_e64 s[10:11], 7, v10
	v_cmp_eq_u32_e64 s[12:13], 8, v10
	v_cmp_eq_u32_e64 s[14:15], 9, v10
	v_cndmask_b32_e64 v11, v11, v19, s[10:11]
	v_cndmask_b32_e64 v11, v11, v2, s[12:13]
	v_cndmask_b32_e64 v11, v11, v16, s[14:15]
	v_cmp_eq_u32_e64 s[16:17], 10, v10
	v_cmp_eq_u32_e64 s[18:19], 11, v10
	v_cmp_eq_u32_e64 s[20:21], 12, v10
	v_cndmask_b32_e64 v11, v11, v15, s[16:17]
	;; [unrolled: 6-line block ×3, first 2 shown]
	v_cndmask_b32_e64 v11, v11, v12, s[24:25]
	v_cndmask_b32_e64 v11, v11, v7, s[26:27]
	v_and_b32_e32 v11, 0xff, v11
	ds_swizzle_b32 v11, v11 offset:swizzle(SWAP,1)
	s_waitcnt lgkmcnt(0)
	v_cndmask_b32_e64 v6, v6, v11, s[2:3]
	v_cmp_eq_u32_e64 s[2:3], 0, v10
	v_cndmask_b32_e64 v10, 6, 7, s[0:1]
	v_cndmask_b32_e64 v7, v7, v11, s[26:27]
	;; [unrolled: 1-line block ×3, first 2 shown]
	v_cmp_eq_u32_e64 s[2:3], 1, v10
	v_cndmask_b32_e64 v12, v12, v11, s[24:25]
	v_cndmask_b32_e64 v13, v13, v11, s[22:23]
	;; [unrolled: 1-line block ×10, first 2 shown]
	v_cndmask_b32_e32 v1, v1, v11, vcc
	v_cndmask_b32_e64 v4, v4, v11, s[6:7]
	v_cndmask_b32_e64 v5, v5, v11, s[4:5]
	;; [unrolled: 1-line block ×3, first 2 shown]
	v_cmp_eq_u32_e64 s[4:5], 2, v10
	v_cmp_eq_u32_e64 s[6:7], 3, v10
	;; [unrolled: 1-line block ×3, first 2 shown]
	v_cndmask_b32_e64 v11, v11, v5, s[4:5]
	v_cndmask_b32_e64 v11, v11, v4, s[6:7]
	;; [unrolled: 1-line block ×3, first 2 shown]
	v_cmp_eq_u32_e64 s[10:11], 5, v10
	v_cmp_eq_u32_e64 s[12:13], 8, v10
	;; [unrolled: 1-line block ×3, first 2 shown]
	v_cndmask_b32_e64 v11, v11, v17, s[10:11]
	v_cndmask_b32_e32 v11, v11, v18, vcc
	v_cndmask_b32_e64 v11, v11, v19, s[0:1]
	v_cndmask_b32_e64 v11, v11, v2, s[12:13]
	v_cndmask_b32_e64 v11, v11, v16, s[14:15]
	v_cmp_eq_u32_e64 s[16:17], 10, v10
	v_cmp_eq_u32_e64 s[18:19], 11, v10
	;; [unrolled: 1-line block ×3, first 2 shown]
	v_cndmask_b32_e64 v11, v11, v15, s[16:17]
	v_cndmask_b32_e64 v11, v11, v14, s[18:19]
	;; [unrolled: 1-line block ×3, first 2 shown]
	v_cmp_eq_u32_e64 s[22:23], 13, v10
	v_cmp_eq_u32_e64 s[24:25], 14, v10
	;; [unrolled: 1-line block ×3, first 2 shown]
	v_cndmask_b32_e64 v11, v11, v13, s[22:23]
	v_cndmask_b32_e64 v11, v11, v12, s[24:25]
	v_cndmask_b32_e64 v11, v11, v7, s[26:27]
	v_and_b32_e32 v11, 0xff, v11
	ds_swizzle_b32 v11, v11 offset:swizzle(SWAP,1)
	s_waitcnt lgkmcnt(0)
	v_cndmask_b32_e64 v6, v6, v11, s[2:3]
	v_cmp_eq_u32_e64 s[2:3], 0, v10
	v_cndmask_b32_e64 v10, 8, 9, s[0:1]
	v_cndmask_b32_e64 v7, v7, v11, s[26:27]
	;; [unrolled: 1-line block ×3, first 2 shown]
	v_cmp_eq_u32_e64 s[2:3], 1, v10
	v_cndmask_b32_e64 v12, v12, v11, s[24:25]
	v_cndmask_b32_e64 v13, v13, v11, s[22:23]
	;; [unrolled: 1-line block ×8, first 2 shown]
	v_cndmask_b32_e32 v18, v18, v11, vcc
	v_cndmask_b32_e64 v17, v17, v11, s[10:11]
	v_cndmask_b32_e64 v1, v1, v11, s[8:9]
	;; [unrolled: 1-line block ×5, first 2 shown]
	v_cmp_eq_u32_e64 s[4:5], 2, v10
	v_cmp_eq_u32_e64 s[6:7], 3, v10
	;; [unrolled: 1-line block ×3, first 2 shown]
	v_cndmask_b32_e64 v11, v11, v5, s[4:5]
	v_cndmask_b32_e64 v11, v11, v4, s[6:7]
	;; [unrolled: 1-line block ×3, first 2 shown]
	v_cmp_eq_u32_e64 s[10:11], 5, v10
	v_cmp_eq_u32_e64 s[12:13], 6, v10
	;; [unrolled: 1-line block ×3, first 2 shown]
	v_cndmask_b32_e64 v11, v11, v17, s[10:11]
	v_cndmask_b32_e64 v11, v11, v18, s[12:13]
	;; [unrolled: 1-line block ×3, first 2 shown]
	v_cndmask_b32_e32 v11, v11, v2, vcc
	v_cndmask_b32_e64 v11, v11, v16, s[0:1]
	v_cmp_eq_u32_e64 s[16:17], 10, v10
	v_cmp_eq_u32_e64 s[18:19], 11, v10
	;; [unrolled: 1-line block ×3, first 2 shown]
	v_cndmask_b32_e64 v11, v11, v15, s[16:17]
	v_cndmask_b32_e64 v11, v11, v14, s[18:19]
	;; [unrolled: 1-line block ×3, first 2 shown]
	v_cmp_eq_u32_e64 s[22:23], 13, v10
	v_cmp_eq_u32_e64 s[24:25], 14, v10
	;; [unrolled: 1-line block ×3, first 2 shown]
	v_cndmask_b32_e64 v11, v11, v13, s[22:23]
	v_cndmask_b32_e64 v11, v11, v12, s[24:25]
	;; [unrolled: 1-line block ×3, first 2 shown]
	v_and_b32_e32 v11, 0xff, v11
	ds_swizzle_b32 v11, v11 offset:swizzle(SWAP,1)
	s_waitcnt lgkmcnt(0)
	v_cndmask_b32_e64 v6, v6, v11, s[2:3]
	v_cmp_eq_u32_e64 s[2:3], 0, v10
	v_cndmask_b32_e64 v10, 10, 11, s[0:1]
	v_cndmask_b32_e64 v7, v7, v11, s[26:27]
	;; [unrolled: 1-line block ×3, first 2 shown]
	v_cmp_eq_u32_e64 s[2:3], 1, v10
	v_cndmask_b32_e64 v12, v12, v11, s[24:25]
	v_cndmask_b32_e64 v13, v13, v11, s[22:23]
	;; [unrolled: 1-line block ×6, first 2 shown]
	v_cndmask_b32_e32 v2, v2, v11, vcc
	v_cndmask_b32_e64 v19, v19, v11, s[14:15]
	v_cndmask_b32_e64 v18, v18, v11, s[12:13]
	;; [unrolled: 1-line block ×7, first 2 shown]
	v_cmp_eq_u32_e64 s[4:5], 2, v10
	v_cmp_eq_u32_e64 s[6:7], 3, v10
	;; [unrolled: 1-line block ×3, first 2 shown]
	v_cndmask_b32_e64 v11, v11, v5, s[4:5]
	v_cndmask_b32_e64 v11, v11, v4, s[6:7]
	v_cndmask_b32_e64 v11, v11, v1, s[8:9]
	v_cmp_eq_u32_e64 s[10:11], 5, v10
	v_cmp_eq_u32_e64 s[12:13], 6, v10
	;; [unrolled: 1-line block ×3, first 2 shown]
	v_cndmask_b32_e64 v11, v11, v17, s[10:11]
	v_cndmask_b32_e64 v11, v11, v18, s[12:13]
	v_cndmask_b32_e64 v11, v11, v19, s[14:15]
	v_cmp_eq_u32_e64 s[16:17], 8, v10
	v_cmp_eq_u32_e64 s[18:19], 9, v10
	;; [unrolled: 1-line block ×3, first 2 shown]
	v_cndmask_b32_e64 v11, v11, v2, s[16:17]
	v_cndmask_b32_e64 v11, v11, v16, s[18:19]
	v_cndmask_b32_e32 v11, v11, v15, vcc
	v_cndmask_b32_e64 v11, v11, v14, s[0:1]
	v_cndmask_b32_e64 v11, v11, v3, s[20:21]
	v_cmp_eq_u32_e64 s[22:23], 13, v10
	v_cmp_eq_u32_e64 s[24:25], 14, v10
	;; [unrolled: 1-line block ×3, first 2 shown]
	v_cndmask_b32_e64 v11, v11, v13, s[22:23]
	v_cndmask_b32_e64 v11, v11, v12, s[24:25]
	;; [unrolled: 1-line block ×3, first 2 shown]
	v_and_b32_e32 v11, 0xff, v11
	ds_swizzle_b32 v11, v11 offset:swizzle(SWAP,1)
	s_waitcnt lgkmcnt(0)
	v_cndmask_b32_e64 v6, v6, v11, s[2:3]
	v_cmp_eq_u32_e64 s[2:3], 0, v10
	v_cndmask_b32_e64 v10, 12, 13, s[0:1]
	v_cndmask_b32_e64 v7, v7, v11, s[26:27]
	v_cndmask_b32_e64 v0, v0, v11, s[2:3]
	v_cmp_eq_u32_e64 s[2:3], 1, v10
	v_cndmask_b32_e64 v12, v12, v11, s[24:25]
	v_cndmask_b32_e64 v13, v13, v11, s[22:23]
	;; [unrolled: 1-line block ×4, first 2 shown]
	v_cndmask_b32_e32 v15, v15, v11, vcc
	v_cndmask_b32_e64 v16, v16, v11, s[18:19]
	v_cndmask_b32_e64 v2, v2, v11, s[16:17]
	;; [unrolled: 1-line block ×9, first 2 shown]
	v_cmp_eq_u32_e64 s[4:5], 2, v10
	v_cmp_eq_u32_e64 s[6:7], 3, v10
	v_cmp_eq_u32_e64 s[8:9], 4, v10
	v_cndmask_b32_e64 v11, v11, v5, s[4:5]
	v_cndmask_b32_e64 v11, v11, v4, s[6:7]
	v_cndmask_b32_e64 v11, v11, v1, s[8:9]
	v_cmp_eq_u32_e64 s[10:11], 5, v10
	v_cmp_eq_u32_e64 s[12:13], 6, v10
	v_cmp_eq_u32_e64 s[14:15], 7, v10
	v_cndmask_b32_e64 v11, v11, v17, s[10:11]
	v_cndmask_b32_e64 v11, v11, v18, s[12:13]
	v_cndmask_b32_e64 v11, v11, v19, s[14:15]
	;; [unrolled: 6-line block ×3, first 2 shown]
	v_cmp_eq_u32_e64 s[22:23], 11, v10
	v_cmp_eq_u32_e64 s[24:25], 14, v10
	;; [unrolled: 1-line block ×3, first 2 shown]
	v_cndmask_b32_e64 v11, v11, v14, s[22:23]
	v_cndmask_b32_e32 v11, v11, v3, vcc
	v_cndmask_b32_e64 v11, v11, v13, s[0:1]
	v_cndmask_b32_e64 v11, v11, v12, s[24:25]
	;; [unrolled: 1-line block ×3, first 2 shown]
	v_and_b32_e32 v11, 0xff, v11
	ds_swizzle_b32 v11, v11 offset:swizzle(SWAP,1)
	s_waitcnt lgkmcnt(0)
	v_cndmask_b32_e64 v21, v6, v11, s[2:3]
	v_cmp_eq_u32_e64 s[2:3], 0, v10
	v_cndmask_b32_e64 v10, 14, 15, s[0:1]
	v_cndmask_b32_e64 v20, v5, v11, s[4:5]
	;; [unrolled: 1-line block ×3, first 2 shown]
	v_cmp_eq_u32_e64 s[2:3], 1, v10
	v_cmp_eq_u32_e64 s[4:5], 2, v10
	v_cndmask_b32_e64 v4, v4, v11, s[6:7]
	v_cndmask_b32_e64 v5, v0, v21, s[2:3]
	v_cndmask_b32_e64 v5, v5, v20, s[4:5]
	v_cmp_eq_u32_e64 s[6:7], 3, v10
	v_cndmask_b32_e64 v1, v1, v11, s[8:9]
	v_cmp_eq_u32_e64 s[8:9], 4, v10
	v_cndmask_b32_e64 v5, v5, v4, s[6:7]
	v_cndmask_b32_e64 v17, v17, v11, s[10:11]
	v_cndmask_b32_e64 v5, v5, v1, s[8:9]
	v_cmp_eq_u32_e64 s[10:11], 5, v10
	v_cndmask_b32_e64 v18, v18, v11, s[12:13]
	;; [unrolled: 6-line block ×5, first 2 shown]
	v_cndmask_b32_e32 v3, v3, v11, vcc
	v_cndmask_b32_e64 v5, v5, v14, s[22:23]
	v_cmp_eq_u32_e64 s[24:25], 12, v10
	v_cndmask_b32_e64 v7, v7, v11, s[26:27]
	v_cndmask_b32_e64 v13, v13, v11, s[0:1]
	;; [unrolled: 1-line block ×3, first 2 shown]
	v_cmp_eq_u32_e64 s[26:27], 13, v10
	s_nop 1
	v_cndmask_b32_e64 v5, v5, v13, s[26:27]
	v_cndmask_b32_e32 v5, v5, v12, vcc
	v_cndmask_b32_e64 v5, v5, v7, s[0:1]
	v_and_b32_e32 v5, 0xff, v5
	ds_swizzle_b32 v11, v5 offset:swizzle(SWAP,1)
	s_waitcnt lgkmcnt(0)
	v_cndmask_b32_e64 v5, v13, v11, s[26:27]
	v_lshlrev_b16_e32 v5, 8, v5
	v_cndmask_b32_e64 v3, v3, v11, s[24:25]
	v_or_b32_sdwa v3, v3, v5 dst_sel:DWORD dst_unused:UNUSED_PAD src0_sel:BYTE_0 src1_sel:DWORD
	v_cndmask_b32_e64 v5, v7, v11, s[0:1]
	v_lshlrev_b16_e32 v5, 8, v5
	v_cndmask_b32_e32 v6, v12, v11, vcc
	v_or_b32_sdwa v5, v6, v5 dst_sel:WORD_1 dst_unused:UNUSED_PAD src0_sel:BYTE_0 src1_sel:DWORD
	v_cndmask_b32_e64 v2, v2, v11, s[16:17]
	v_or_b32_sdwa v7, v3, v5 dst_sel:DWORD dst_unused:UNUSED_PAD src0_sel:WORD_0 src1_sel:DWORD
	v_cndmask_b32_e64 v3, v16, v11, s[18:19]
	v_lshlrev_b16_e32 v3, 8, v3
	v_or_b32_sdwa v2, v2, v3 dst_sel:DWORD dst_unused:UNUSED_PAD src0_sel:BYTE_0 src1_sel:DWORD
	v_cndmask_b32_e64 v3, v14, v11, s[22:23]
	v_lshlrev_b16_e32 v3, 8, v3
	v_cndmask_b32_e64 v5, v15, v11, s[20:21]
	v_or_b32_sdwa v3, v5, v3 dst_sel:WORD_1 dst_unused:UNUSED_PAD src0_sel:BYTE_0 src1_sel:DWORD
	v_cndmask_b32_e64 v1, v1, v11, s[8:9]
	v_or_b32_sdwa v6, v2, v3 dst_sel:DWORD dst_unused:UNUSED_PAD src0_sel:WORD_0 src1_sel:DWORD
	v_cndmask_b32_e64 v2, v17, v11, s[10:11]
	v_lshlrev_b16_e32 v2, 8, v2
	v_or_b32_sdwa v1, v1, v2 dst_sel:DWORD dst_unused:UNUSED_PAD src0_sel:BYTE_0 src1_sel:DWORD
	v_cndmask_b32_e64 v2, v19, v11, s[14:15]
	v_lshlrev_b16_e32 v2, 8, v2
	v_cndmask_b32_e64 v3, v18, v11, s[12:13]
	v_or_b32_sdwa v2, v3, v2 dst_sel:WORD_1 dst_unused:UNUSED_PAD src0_sel:BYTE_0 src1_sel:DWORD
	v_cmp_eq_u32_e32 vcc, 0, v10
	v_or_b32_sdwa v5, v1, v2 dst_sel:DWORD dst_unused:UNUSED_PAD src0_sel:WORD_0 src1_sel:DWORD
	v_cndmask_b32_e64 v1, v21, v11, s[2:3]
	v_lshlrev_b16_e32 v1, 8, v1
	v_cndmask_b32_e32 v0, v0, v11, vcc
	v_or_b32_sdwa v0, v0, v1 dst_sel:DWORD dst_unused:UNUSED_PAD src0_sel:BYTE_0 src1_sel:DWORD
	v_cndmask_b32_e64 v1, v4, v11, s[6:7]
	v_lshlrev_b16_e32 v1, 8, v1
	v_cndmask_b32_e64 v2, v20, v11, s[4:5]
	v_or_b32_sdwa v1, v2, v1 dst_sel:WORD_1 dst_unused:UNUSED_PAD src0_sel:BYTE_0 src1_sel:DWORD
	s_nop 0
	v_or_b32_sdwa v4, v0, v1 dst_sel:DWORD dst_unused:UNUSED_PAD src0_sel:WORD_0 src1_sel:DWORD
.LBB39_5:
	v_readlane_b32 s0, v43, 0
	v_readlane_b32 s2, v43, 2
	;; [unrolled: 1-line block ×4, first 2 shown]
	s_nop 0
	v_lshl_add_u64 v[0:1], s[2:3], 0, v[8:9]
	global_store_dwordx4 v[0:1], v[4:7], off
	s_endpgm
	.section	.rodata,"a",@progbits
	.p2align	6, 0x0
	.amdhsa_kernel _Z20warp_exchange_kernelILj16ELj16EN6common25BlockedToStripedShuffleOpEaEvPT2_S3_b
		.amdhsa_group_segment_fixed_size 0
		.amdhsa_private_segment_fixed_size 0
		.amdhsa_kernarg_size 20
		.amdhsa_user_sgpr_count 2
		.amdhsa_user_sgpr_dispatch_ptr 0
		.amdhsa_user_sgpr_queue_ptr 0
		.amdhsa_user_sgpr_kernarg_segment_ptr 1
		.amdhsa_user_sgpr_dispatch_id 0
		.amdhsa_user_sgpr_kernarg_preload_length 0
		.amdhsa_user_sgpr_kernarg_preload_offset 0
		.amdhsa_user_sgpr_private_segment_size 0
		.amdhsa_uses_dynamic_stack 0
		.amdhsa_enable_private_segment 0
		.amdhsa_system_sgpr_workgroup_id_x 1
		.amdhsa_system_sgpr_workgroup_id_y 0
		.amdhsa_system_sgpr_workgroup_id_z 0
		.amdhsa_system_sgpr_workgroup_info 0
		.amdhsa_system_vgpr_workitem_id 0
		.amdhsa_next_free_vgpr 44
		.amdhsa_next_free_sgpr 100
		.amdhsa_accum_offset 44
		.amdhsa_reserve_vcc 1
		.amdhsa_float_round_mode_32 0
		.amdhsa_float_round_mode_16_64 0
		.amdhsa_float_denorm_mode_32 3
		.amdhsa_float_denorm_mode_16_64 3
		.amdhsa_dx10_clamp 1
		.amdhsa_ieee_mode 1
		.amdhsa_fp16_overflow 0
		.amdhsa_tg_split 0
		.amdhsa_exception_fp_ieee_invalid_op 0
		.amdhsa_exception_fp_denorm_src 0
		.amdhsa_exception_fp_ieee_div_zero 0
		.amdhsa_exception_fp_ieee_overflow 0
		.amdhsa_exception_fp_ieee_underflow 0
		.amdhsa_exception_fp_ieee_inexact 0
		.amdhsa_exception_int_div_zero 0
	.end_amdhsa_kernel
	.section	.text._Z20warp_exchange_kernelILj16ELj16EN6common25BlockedToStripedShuffleOpEaEvPT2_S3_b,"axG",@progbits,_Z20warp_exchange_kernelILj16ELj16EN6common25BlockedToStripedShuffleOpEaEvPT2_S3_b,comdat
.Lfunc_end39:
	.size	_Z20warp_exchange_kernelILj16ELj16EN6common25BlockedToStripedShuffleOpEaEvPT2_S3_b, .Lfunc_end39-_Z20warp_exchange_kernelILj16ELj16EN6common25BlockedToStripedShuffleOpEaEvPT2_S3_b
                                        ; -- End function
	.section	.AMDGPU.csdata,"",@progbits
; Kernel info:
; codeLenInByte = 27564
; NumSgprs: 106
; NumVgprs: 44
; NumAgprs: 0
; TotalNumVgprs: 44
; ScratchSize: 0
; MemoryBound: 0
; FloatMode: 240
; IeeeMode: 1
; LDSByteSize: 0 bytes/workgroup (compile time only)
; SGPRBlocks: 13
; VGPRBlocks: 5
; NumSGPRsForWavesPerEU: 106
; NumVGPRsForWavesPerEU: 44
; AccumOffset: 44
; Occupancy: 7
; WaveLimiterHint : 0
; COMPUTE_PGM_RSRC2:SCRATCH_EN: 0
; COMPUTE_PGM_RSRC2:USER_SGPR: 2
; COMPUTE_PGM_RSRC2:TRAP_HANDLER: 0
; COMPUTE_PGM_RSRC2:TGID_X_EN: 1
; COMPUTE_PGM_RSRC2:TGID_Y_EN: 0
; COMPUTE_PGM_RSRC2:TGID_Z_EN: 0
; COMPUTE_PGM_RSRC2:TIDIG_COMP_CNT: 0
; COMPUTE_PGM_RSRC3_GFX90A:ACCUM_OFFSET: 10
; COMPUTE_PGM_RSRC3_GFX90A:TG_SPLIT: 0
	.section	.text._Z20warp_exchange_kernelILj8ELj8EN6common25BlockedToStripedShuffleOpEiEvPT2_S3_b,"axG",@progbits,_Z20warp_exchange_kernelILj8ELj8EN6common25BlockedToStripedShuffleOpEiEvPT2_S3_b,comdat
	.protected	_Z20warp_exchange_kernelILj8ELj8EN6common25BlockedToStripedShuffleOpEiEvPT2_S3_b ; -- Begin function _Z20warp_exchange_kernelILj8ELj8EN6common25BlockedToStripedShuffleOpEiEvPT2_S3_b
	.globl	_Z20warp_exchange_kernelILj8ELj8EN6common25BlockedToStripedShuffleOpEiEvPT2_S3_b
	.p2align	8
	.type	_Z20warp_exchange_kernelILj8ELj8EN6common25BlockedToStripedShuffleOpEiEvPT2_S3_b,@function
_Z20warp_exchange_kernelILj8ELj8EN6common25BlockedToStripedShuffleOpEiEvPT2_S3_b: ; @_Z20warp_exchange_kernelILj8ELj8EN6common25BlockedToStripedShuffleOpEiEvPT2_S3_b
; %bb.0:
	s_load_dwordx4 s[4:7], s[2:3], 0x0
	s_load_dword s8, s[2:3], 0x10
	v_and_b32_e32 v10, 0x3ff, v0
	v_lshlrev_b32_e32 v1, 5, v10
	v_mbcnt_lo_u32_b32 v11, -1, 0
	s_waitcnt lgkmcnt(0)
	global_load_dwordx4 v[2:5], v1, s[4:5] offset:16
	global_load_dwordx4 v[6:9], v1, s[4:5]
	v_mbcnt_hi_u32_b32 v11, -1, v11
	v_and_b32_e32 v12, 4, v11
	v_lshlrev_b32_e32 v13, 2, v12
	v_cmp_eq_u32_e32 vcc, 0, v12
	s_bitcmp0_b32 s8, 0
	v_lshlrev_b32_e32 v1, 3, v10
	v_xor_b32_e32 v23, 16, v13
	v_cndmask_b32_e64 v22, 4, 20, vcc
	v_cndmask_b32_e64 v21, 8, 24, vcc
	;; [unrolled: 1-line block ×3, first 2 shown]
	v_and_b32_e32 v20, 2, v11
	v_and_b32_e32 v18, 1, v11
	s_cbranch_scc0 .LBB40_2
; %bb.1:
	s_load_dwordx2 s[0:1], s[0:1], 0x4
	v_bfe_u32 v11, v0, 10, 10
	v_bfe_u32 v0, v0, 20, 10
	v_cmp_eq_u32_e32 vcc, 0, v20
	s_waitcnt lgkmcnt(0)
	s_lshr_b32 s0, s0, 16
	s_mul_i32 s0, s0, s1
	v_mul_lo_u32 v10, s0, v10
	v_mad_u32_u24 v10, v11, s1, v10
	v_add_lshl_u32 v0, v10, v0, 5
	s_waitcnt vmcnt(0)
	ds_write_b128 v0, v[6:9]
	ds_write_b128 v0, v[2:5] offset:16
	v_or_b32_e32 v10, v0, v23
	ds_read_b32 v11, v10
	v_or_b32_e32 v12, v0, v22
	v_or_b32_e32 v13, v0, v19
	v_cndmask_b32_e64 v14, 4, 12, vcc
	v_cndmask_b32_e64 v15, 16, 24, vcc
	s_waitcnt lgkmcnt(0)
	ds_swizzle_b32 v11, v11 offset:swizzle(SWAP,4)
	v_or_b32_e32 v14, v0, v14
	v_or_b32_e32 v15, v0, v15
	v_cndmask_b32_e64 v16, 20, 28, vcc
	v_or_b32_e32 v16, v0, v16
	s_waitcnt lgkmcnt(0)
	ds_write_b32 v10, v11
	ds_read_b32 v10, v12
	v_or_b32_e32 v11, v0, v21
	v_cmp_eq_u32_e64 s[0:1], 0, v18
	s_waitcnt lgkmcnt(0)
	ds_swizzle_b32 v10, v10 offset:swizzle(SWAP,4)
	v_cndmask_b32_e64 v17, 24, 28, s[0:1]
	v_or_b32_e32 v17, v0, v17
	s_waitcnt lgkmcnt(0)
	ds_write_b32 v12, v10
	ds_read_b32 v10, v11
	v_lshlrev_b32_e32 v12, 2, v20
	v_xor_b32_e32 v12, 8, v12
	v_or_b32_e32 v12, v0, v12
	s_waitcnt lgkmcnt(0)
	ds_swizzle_b32 v10, v10 offset:swizzle(SWAP,4)
	s_waitcnt lgkmcnt(0)
	ds_write_b32 v11, v10
	ds_read_b32 v10, v13
	ds_read_b32 v11, v12
	s_waitcnt lgkmcnt(1)
	ds_swizzle_b32 v10, v10 offset:swizzle(SWAP,4)
	s_waitcnt lgkmcnt(1)
	ds_swizzle_b32 v11, v11 offset:swizzle(SWAP,2)
	s_waitcnt lgkmcnt(1)
	ds_write_b32 v13, v10
	s_waitcnt lgkmcnt(1)
	ds_write_b32 v12, v11
	ds_read_b32 v10, v14
	ds_read_b32 v11, v15
	v_lshlrev_b32_e32 v12, 2, v18
	v_xor_b32_e32 v12, 4, v12
	v_cndmask_b32_e64 v13, 8, 12, s[0:1]
	s_waitcnt lgkmcnt(1)
	ds_swizzle_b32 v10, v10 offset:swizzle(SWAP,2)
	s_waitcnt lgkmcnt(1)
	ds_swizzle_b32 v11, v11 offset:swizzle(SWAP,2)
	v_or_b32_e32 v12, v0, v12
	v_or_b32_e32 v13, v0, v13
	s_waitcnt lgkmcnt(1)
	ds_write_b32 v14, v10
	s_waitcnt lgkmcnt(1)
	ds_write_b32 v15, v11
	ds_read_b32 v11, v16
	ds_read_b32 v10, v12
	;; [unrolled: 1-line block ×3, first 2 shown]
	v_cndmask_b32_e64 v15, 16, 20, s[0:1]
	v_or_b32_e32 v15, v0, v15
	s_waitcnt lgkmcnt(2)
	ds_swizzle_b32 v11, v11 offset:swizzle(SWAP,2)
	s_waitcnt lgkmcnt(2)
	ds_swizzle_b32 v10, v10 offset:swizzle(SWAP,1)
	;; [unrolled: 2-line block ×3, first 2 shown]
	s_waitcnt lgkmcnt(2)
	ds_write_b32 v16, v11
	ds_read_b32 v11, v15
	ds_read_b32 v16, v17
	s_waitcnt lgkmcnt(1)
	ds_swizzle_b32 v11, v11 offset:swizzle(SWAP,1)
	s_waitcnt lgkmcnt(1)
	ds_swizzle_b32 v16, v16 offset:swizzle(SWAP,1)
	ds_write_b32 v12, v10
	ds_write_b32 v13, v14
	s_waitcnt lgkmcnt(3)
	ds_write_b32 v15, v11
	s_waitcnt lgkmcnt(3)
	ds_write_b32 v17, v16
	ds_read_b128 v[10:13], v0
	ds_read_b128 v[14:17], v0 offset:16
	s_cbranch_execz .LBB40_3
	s_branch .LBB40_4
.LBB40_2:
                                        ; implicit-def: $vgpr16_vgpr17
                                        ; implicit-def: $vgpr12_vgpr13
.LBB40_3:
	s_waitcnt vmcnt(0)
	scratch_store_dwordx4 off, v[6:9], off
	scratch_store_dwordx4 off, v[2:5], off offset:16
	scratch_load_dword v0, v23, off
	v_cmp_eq_u32_e32 vcc, 0, v20
	v_lshlrev_b32_e32 v2, 2, v20
	v_xor_b32_e32 v2, 8, v2
	v_or_b32_e32 v2, 0, v2
	v_cndmask_b32_e64 v4, 16, 24, vcc
	v_cndmask_b32_e64 v3, 4, 12, vcc
	v_or_b32_e32 v3, 0, v3
	v_cndmask_b32_e64 v6, 20, 28, vcc
	v_cmp_eq_u32_e32 vcc, 0, v18
	s_waitcnt vmcnt(0)
	ds_swizzle_b32 v0, v0 offset:swizzle(SWAP,4)
	v_cndmask_b32_e64 v7, 16, 20, vcc
	v_cndmask_b32_e64 v8, 24, 28, vcc
	s_waitcnt lgkmcnt(0)
	scratch_store_dword v23, v0, off
	scratch_load_dword v0, v22, off
	s_waitcnt vmcnt(0)
	ds_swizzle_b32 v0, v0 offset:swizzle(SWAP,4)
	s_waitcnt lgkmcnt(0)
	scratch_store_dword v22, v0, off
	scratch_load_dword v0, v21, off
	s_waitcnt vmcnt(0)
	ds_swizzle_b32 v0, v0 offset:swizzle(SWAP,4)
	;; [unrolled: 5-line block ×3, first 2 shown]
	s_waitcnt lgkmcnt(0)
	scratch_store_dword v19, v0, off
	scratch_load_dword v0, v2, off
	s_nop 0
	scratch_load_dword v5, v4, off
	s_waitcnt vmcnt(1)
	ds_swizzle_b32 v0, v0 offset:swizzle(SWAP,2)
	s_waitcnt vmcnt(0)
	ds_swizzle_b32 v5, v5 offset:swizzle(SWAP,2)
	s_waitcnt lgkmcnt(1)
	scratch_store_dword v2, v0, off
	s_waitcnt lgkmcnt(0)
	scratch_store_dword v4, v5, off
	scratch_load_dword v0, v3, off
	scratch_load_dword v2, v6, off
	v_lshlrev_b32_e32 v4, 2, v18
	v_xor_b32_e32 v4, 4, v4
	v_cndmask_b32_e64 v5, 8, 12, vcc
	v_or_b32_e32 v4, 0, v4
	v_or_b32_e32 v5, 0, v5
	s_waitcnt vmcnt(1)
	ds_swizzle_b32 v0, v0 offset:swizzle(SWAP,2)
	s_waitcnt vmcnt(0)
	ds_swizzle_b32 v2, v2 offset:swizzle(SWAP,2)
	s_waitcnt lgkmcnt(1)
	scratch_store_dword v3, v0, off
	s_waitcnt lgkmcnt(0)
	scratch_store_dword v6, v2, off
	scratch_load_dword v0, v4, off
	s_nop 0
	scratch_load_dword v2, v5, off
	scratch_load_dword v3, v7, off
	;; [unrolled: 1-line block ×3, first 2 shown]
	s_waitcnt vmcnt(3)
	ds_swizzle_b32 v0, v0 offset:swizzle(SWAP,1)
	s_waitcnt vmcnt(2)
	ds_swizzle_b32 v2, v2 offset:swizzle(SWAP,1)
	;; [unrolled: 2-line block ×4, first 2 shown]
	s_waitcnt lgkmcnt(3)
	scratch_store_dword v4, v0, off
	s_waitcnt lgkmcnt(2)
	scratch_store_dword v5, v2, off
	;; [unrolled: 2-line block ×4, first 2 shown]
	scratch_load_dwordx4 v[10:13], off, off
	scratch_load_dwordx4 v[14:17], off, off offset:16
.LBB40_4:
	v_lshlrev_b32_e32 v0, 2, v1
	s_waitcnt vmcnt(1) lgkmcnt(1)
	global_store_dwordx4 v0, v[10:13], s[6:7]
	s_waitcnt vmcnt(1) lgkmcnt(0)
	global_store_dwordx4 v0, v[14:17], s[6:7] offset:16
	s_endpgm
	.section	.rodata,"a",@progbits
	.p2align	6, 0x0
	.amdhsa_kernel _Z20warp_exchange_kernelILj8ELj8EN6common25BlockedToStripedShuffleOpEiEvPT2_S3_b
		.amdhsa_group_segment_fixed_size 32768
		.amdhsa_private_segment_fixed_size 48
		.amdhsa_kernarg_size 20
		.amdhsa_user_sgpr_count 4
		.amdhsa_user_sgpr_dispatch_ptr 1
		.amdhsa_user_sgpr_queue_ptr 0
		.amdhsa_user_sgpr_kernarg_segment_ptr 1
		.amdhsa_user_sgpr_dispatch_id 0
		.amdhsa_user_sgpr_kernarg_preload_length 0
		.amdhsa_user_sgpr_kernarg_preload_offset 0
		.amdhsa_user_sgpr_private_segment_size 0
		.amdhsa_uses_dynamic_stack 0
		.amdhsa_enable_private_segment 1
		.amdhsa_system_sgpr_workgroup_id_x 1
		.amdhsa_system_sgpr_workgroup_id_y 0
		.amdhsa_system_sgpr_workgroup_id_z 0
		.amdhsa_system_sgpr_workgroup_info 0
		.amdhsa_system_vgpr_workitem_id 2
		.amdhsa_next_free_vgpr 24
		.amdhsa_next_free_sgpr 9
		.amdhsa_accum_offset 24
		.amdhsa_reserve_vcc 1
		.amdhsa_float_round_mode_32 0
		.amdhsa_float_round_mode_16_64 0
		.amdhsa_float_denorm_mode_32 3
		.amdhsa_float_denorm_mode_16_64 3
		.amdhsa_dx10_clamp 1
		.amdhsa_ieee_mode 1
		.amdhsa_fp16_overflow 0
		.amdhsa_tg_split 0
		.amdhsa_exception_fp_ieee_invalid_op 0
		.amdhsa_exception_fp_denorm_src 0
		.amdhsa_exception_fp_ieee_div_zero 0
		.amdhsa_exception_fp_ieee_overflow 0
		.amdhsa_exception_fp_ieee_underflow 0
		.amdhsa_exception_fp_ieee_inexact 0
		.amdhsa_exception_int_div_zero 0
	.end_amdhsa_kernel
	.section	.text._Z20warp_exchange_kernelILj8ELj8EN6common25BlockedToStripedShuffleOpEiEvPT2_S3_b,"axG",@progbits,_Z20warp_exchange_kernelILj8ELj8EN6common25BlockedToStripedShuffleOpEiEvPT2_S3_b,comdat
.Lfunc_end40:
	.size	_Z20warp_exchange_kernelILj8ELj8EN6common25BlockedToStripedShuffleOpEiEvPT2_S3_b, .Lfunc_end40-_Z20warp_exchange_kernelILj8ELj8EN6common25BlockedToStripedShuffleOpEiEvPT2_S3_b
                                        ; -- End function
	.section	.AMDGPU.csdata,"",@progbits
; Kernel info:
; codeLenInByte = 1276
; NumSgprs: 15
; NumVgprs: 24
; NumAgprs: 0
; TotalNumVgprs: 24
; ScratchSize: 48
; MemoryBound: 0
; FloatMode: 240
; IeeeMode: 1
; LDSByteSize: 32768 bytes/workgroup (compile time only)
; SGPRBlocks: 1
; VGPRBlocks: 2
; NumSGPRsForWavesPerEU: 15
; NumVGPRsForWavesPerEU: 24
; AccumOffset: 24
; Occupancy: 8
; WaveLimiterHint : 0
; COMPUTE_PGM_RSRC2:SCRATCH_EN: 1
; COMPUTE_PGM_RSRC2:USER_SGPR: 4
; COMPUTE_PGM_RSRC2:TRAP_HANDLER: 0
; COMPUTE_PGM_RSRC2:TGID_X_EN: 1
; COMPUTE_PGM_RSRC2:TGID_Y_EN: 0
; COMPUTE_PGM_RSRC2:TGID_Z_EN: 0
; COMPUTE_PGM_RSRC2:TIDIG_COMP_CNT: 2
; COMPUTE_PGM_RSRC3_GFX90A:ACCUM_OFFSET: 5
; COMPUTE_PGM_RSRC3_GFX90A:TG_SPLIT: 0
	.section	.text._Z20warp_exchange_kernelILj4ELj8EN6common25BlockedToStripedShuffleOpE12hip_bfloat16EvPT2_S4_b,"axG",@progbits,_Z20warp_exchange_kernelILj4ELj8EN6common25BlockedToStripedShuffleOpE12hip_bfloat16EvPT2_S4_b,comdat
	.protected	_Z20warp_exchange_kernelILj4ELj8EN6common25BlockedToStripedShuffleOpE12hip_bfloat16EvPT2_S4_b ; -- Begin function _Z20warp_exchange_kernelILj4ELj8EN6common25BlockedToStripedShuffleOpE12hip_bfloat16EvPT2_S4_b
	.globl	_Z20warp_exchange_kernelILj4ELj8EN6common25BlockedToStripedShuffleOpE12hip_bfloat16EvPT2_S4_b
	.p2align	8
	.type	_Z20warp_exchange_kernelILj4ELj8EN6common25BlockedToStripedShuffleOpE12hip_bfloat16EvPT2_S4_b,@function
_Z20warp_exchange_kernelILj4ELj8EN6common25BlockedToStripedShuffleOpE12hip_bfloat16EvPT2_S4_b: ; @_Z20warp_exchange_kernelILj4ELj8EN6common25BlockedToStripedShuffleOpE12hip_bfloat16EvPT2_S4_b
; %bb.0:
	s_load_dwordx4 s[4:7], s[2:3], 0x0
	s_load_dword s8, s[2:3], 0x10
	v_and_b32_e32 v1, 0x3ff, v0
	v_lshlrev_b32_e32 v2, 3, v1
	s_load_dwordx2 s[0:1], s[0:1], 0x4
	s_waitcnt lgkmcnt(0)
	global_load_dwordx2 v[2:3], v2, s[4:5]
	v_mbcnt_lo_u32_b32 v4, -1, 0
	v_bfe_u32 v8, v0, 10, 10
	v_mbcnt_hi_u32_b32 v4, -1, v4
	s_lshr_b32 s0, s0, 16
	s_mul_i32 s0, s0, s1
	v_bfe_u32 v0, v0, 20, 10
	v_lshlrev_b32_e32 v6, 2, v1
	v_and_b32_e32 v11, 3, v4
	v_add_u32_e32 v7, -1, v4
	v_bfe_u32 v5, v4, 2, 1
	v_lshlrev_b32_e32 v9, 2, v4
	v_mul_u32_u24_e32 v4, s1, v8
	v_mul_lo_u32 v1, s0, v1
	s_and_b32 s2, s8, 1
	v_add3_u32 v0, v1, v4, v0
	v_and_b32_e32 v12, 3, v7
	v_xor_b32_e32 v10, 2, v11
	v_xor_b32_e32 v7, 1, v5
	s_cmp_eq_u32 s2, 0
	v_lshlrev_b32_e32 v8, 3, v0
	s_waitcnt vmcnt(0)
	v_lshrrev_b32_e32 v14, 16, v2
	v_lshrrev_b32_e32 v13, 16, v3
	v_and_b32_e32 v15, 0xffff, v3
	v_xor_b32_e32 v3, 3, v5
	s_cbranch_scc0 .LBB41_2
; %bb.1:
	v_mov_b32_dpp v0, v14 quad_perm:[3,0,1,2] row_mask:0xf bank_mask:0xf
	v_mov_b32_dpp v1, v15 quad_perm:[2,3,0,1] row_mask:0xf bank_mask:0xf
	;; [unrolled: 1-line block ×3, first 2 shown]
	s_mov_b32 s0, 0x5040100
	v_add_u32_e32 v4, 0x2000, v8
	v_perm_b32 v1, v16, v1, s0
	v_perm_b32 v0, v0, v2, s0
	v_add_u32_e32 v16, -1, v10
	ds_write_b64 v8, v[0:1] offset:8192
	v_lshl_or_b32 v1, v12, 1, v4
	v_and_b32_e32 v16, 3, v16
	v_lshl_or_b32 v0, v11, 1, v4
	ds_read_u16 v1, v1
	v_lshl_or_b32 v16, v16, 1, v4
	ds_read_u16 v16, v16
	ds_read_u16 v0, v0
	v_lshl_or_b32 v4, v10, 1, v4
	ds_read_u16 v4, v4
	s_waitcnt lgkmcnt(3)
	v_mov_b32_dpp v1, v1 quad_perm:[1,2,3,0] row_mask:0xf bank_mask:0xf
	s_waitcnt lgkmcnt(2)
	v_mov_b32_dpp v16, v16 quad_perm:[3,0,1,2] row_mask:0xf bank_mask:0xf
	v_xor_b32_e32 v17, 16, v9
	v_and_b32_e32 v1, 0xffff, v1
	v_and_b32_e32 v16, 0xffff, v16
	ds_bpermute_b32 v16, v17, v16
	ds_bpermute_b32 v18, v17, v1
	s_waitcnt lgkmcnt(2)
	v_mov_b32_dpp v1, v4 quad_perm:[2,3,0,1] row_mask:0xf bank_mask:0xf
	v_lshl_or_b32 v4, v5, 1, v8
	s_waitcnt lgkmcnt(1)
	v_perm_b32 v1, v16, v1, s0
	s_waitcnt lgkmcnt(0)
	v_perm_b32 v0, v18, v0, s0
	ds_write_b64 v8, v[0:1]
	v_lshl_or_b32 v0, v7, 1, v8
	v_lshl_or_b32 v1, v3, 1, v8
	ds_read_u16 v0, v0
	ds_read_u16 v1, v1
	;; [unrolled: 1-line block ×3, first 2 shown]
	ds_read_u16 v4, v4 offset:4
	s_waitcnt lgkmcnt(3)
	ds_bpermute_b32 v0, v17, v0
	s_waitcnt lgkmcnt(3)
	ds_bpermute_b32 v1, v17, v1
	s_waitcnt lgkmcnt(2)
	v_perm_b32 v4, v4, v16, s0
	s_cbranch_execz .LBB41_3
	s_branch .LBB41_4
.LBB41_2:
                                        ; implicit-def: $vgpr4
                                        ; implicit-def: $vgpr0_vgpr1
.LBB41_3:
	s_waitcnt lgkmcnt(1)
	s_nop 0
	v_mov_b32_dpp v0, v14 quad_perm:[3,0,1,2] row_mask:0xf bank_mask:0xf
	s_waitcnt lgkmcnt(0)
	v_mov_b32_dpp v1, v15 quad_perm:[2,3,0,1] row_mask:0xf bank_mask:0xf
	v_mov_b32_dpp v13, v13 quad_perm:[1,2,3,0] row_mask:0xf bank_mask:0xf
	s_mov_b32 s0, 0x5040100
	v_add_u32_e32 v4, 0x6000, v8
	v_perm_b32 v1, v13, v1, s0
	v_perm_b32 v0, v0, v2, s0
	v_add_u32_e32 v2, -1, v10
	ds_write_b64 v8, v[0:1] offset:24576
	v_lshl_or_b32 v1, v12, 1, v4
	v_and_b32_e32 v2, 3, v2
	v_lshl_or_b32 v0, v11, 1, v4
	ds_read_u16 v1, v1
	v_lshl_or_b32 v2, v2, 1, v4
	ds_read_u16 v2, v2
	ds_read_u16 v0, v0
	v_lshl_or_b32 v4, v10, 1, v4
	ds_read_u16 v4, v4
	s_waitcnt lgkmcnt(3)
	v_mov_b32_dpp v1, v1 quad_perm:[1,2,3,0] row_mask:0xf bank_mask:0xf
	s_waitcnt lgkmcnt(2)
	v_mov_b32_dpp v2, v2 quad_perm:[3,0,1,2] row_mask:0xf bank_mask:0xf
	v_xor_b32_e32 v9, 16, v9
	v_and_b32_e32 v1, 0xffff, v1
	v_and_b32_e32 v2, 0xffff, v2
	ds_bpermute_b32 v2, v9, v2
	ds_bpermute_b32 v10, v9, v1
	s_waitcnt lgkmcnt(2)
	v_mov_b32_dpp v1, v4 quad_perm:[2,3,0,1] row_mask:0xf bank_mask:0xf
	v_add_u32_e32 v11, 0x4000, v8
	s_waitcnt lgkmcnt(1)
	v_perm_b32 v1, v2, v1, s0
	s_waitcnt lgkmcnt(0)
	v_perm_b32 v0, v10, v0, s0
	ds_write_b64 v8, v[0:1] offset:16384
	v_lshl_or_b32 v0, v7, 1, v11
	v_lshl_or_b32 v1, v3, 1, v11
	ds_read_u16 v0, v0
	ds_read_u16 v1, v1
	v_lshl_or_b32 v2, v5, 1, v11
	ds_read_u16 v3, v2
	ds_read_u16 v2, v2 offset:4
	s_waitcnt lgkmcnt(3)
	ds_bpermute_b32 v0, v9, v0
	s_waitcnt lgkmcnt(3)
	ds_bpermute_b32 v1, v9, v1
	s_waitcnt lgkmcnt(2)
	v_perm_b32 v4, v2, v3, s0
.LBB41_4:
	s_mov_b32 s0, 0x5040100
	s_waitcnt lgkmcnt(0)
	v_perm_b32 v5, v1, v0, s0
	v_lshlrev_b32_e32 v0, 1, v6
	global_store_dwordx2 v0, v[4:5], s[6:7]
	s_endpgm
	.section	.rodata,"a",@progbits
	.p2align	6, 0x0
	.amdhsa_kernel _Z20warp_exchange_kernelILj4ELj8EN6common25BlockedToStripedShuffleOpE12hip_bfloat16EvPT2_S4_b
		.amdhsa_group_segment_fixed_size 32768
		.amdhsa_private_segment_fixed_size 0
		.amdhsa_kernarg_size 20
		.amdhsa_user_sgpr_count 4
		.amdhsa_user_sgpr_dispatch_ptr 1
		.amdhsa_user_sgpr_queue_ptr 0
		.amdhsa_user_sgpr_kernarg_segment_ptr 1
		.amdhsa_user_sgpr_dispatch_id 0
		.amdhsa_user_sgpr_kernarg_preload_length 0
		.amdhsa_user_sgpr_kernarg_preload_offset 0
		.amdhsa_user_sgpr_private_segment_size 0
		.amdhsa_uses_dynamic_stack 0
		.amdhsa_enable_private_segment 0
		.amdhsa_system_sgpr_workgroup_id_x 1
		.amdhsa_system_sgpr_workgroup_id_y 0
		.amdhsa_system_sgpr_workgroup_id_z 0
		.amdhsa_system_sgpr_workgroup_info 0
		.amdhsa_system_vgpr_workitem_id 2
		.amdhsa_next_free_vgpr 19
		.amdhsa_next_free_sgpr 9
		.amdhsa_accum_offset 20
		.amdhsa_reserve_vcc 0
		.amdhsa_float_round_mode_32 0
		.amdhsa_float_round_mode_16_64 0
		.amdhsa_float_denorm_mode_32 3
		.amdhsa_float_denorm_mode_16_64 3
		.amdhsa_dx10_clamp 1
		.amdhsa_ieee_mode 1
		.amdhsa_fp16_overflow 0
		.amdhsa_tg_split 0
		.amdhsa_exception_fp_ieee_invalid_op 0
		.amdhsa_exception_fp_denorm_src 0
		.amdhsa_exception_fp_ieee_div_zero 0
		.amdhsa_exception_fp_ieee_overflow 0
		.amdhsa_exception_fp_ieee_underflow 0
		.amdhsa_exception_fp_ieee_inexact 0
		.amdhsa_exception_int_div_zero 0
	.end_amdhsa_kernel
	.section	.text._Z20warp_exchange_kernelILj4ELj8EN6common25BlockedToStripedShuffleOpE12hip_bfloat16EvPT2_S4_b,"axG",@progbits,_Z20warp_exchange_kernelILj4ELj8EN6common25BlockedToStripedShuffleOpE12hip_bfloat16EvPT2_S4_b,comdat
.Lfunc_end41:
	.size	_Z20warp_exchange_kernelILj4ELj8EN6common25BlockedToStripedShuffleOpE12hip_bfloat16EvPT2_S4_b, .Lfunc_end41-_Z20warp_exchange_kernelILj4ELj8EN6common25BlockedToStripedShuffleOpE12hip_bfloat16EvPT2_S4_b
                                        ; -- End function
	.section	.AMDGPU.csdata,"",@progbits
; Kernel info:
; codeLenInByte = 912
; NumSgprs: 15
; NumVgprs: 19
; NumAgprs: 0
; TotalNumVgprs: 19
; ScratchSize: 0
; MemoryBound: 0
; FloatMode: 240
; IeeeMode: 1
; LDSByteSize: 32768 bytes/workgroup (compile time only)
; SGPRBlocks: 1
; VGPRBlocks: 2
; NumSGPRsForWavesPerEU: 15
; NumVGPRsForWavesPerEU: 19
; AccumOffset: 20
; Occupancy: 8
; WaveLimiterHint : 0
; COMPUTE_PGM_RSRC2:SCRATCH_EN: 0
; COMPUTE_PGM_RSRC2:USER_SGPR: 4
; COMPUTE_PGM_RSRC2:TRAP_HANDLER: 0
; COMPUTE_PGM_RSRC2:TGID_X_EN: 1
; COMPUTE_PGM_RSRC2:TGID_Y_EN: 0
; COMPUTE_PGM_RSRC2:TGID_Z_EN: 0
; COMPUTE_PGM_RSRC2:TIDIG_COMP_CNT: 2
; COMPUTE_PGM_RSRC3_GFX90A:ACCUM_OFFSET: 4
; COMPUTE_PGM_RSRC3_GFX90A:TG_SPLIT: 0
	.section	.text._Z20warp_exchange_kernelILj4ELj64EN6common25BlockedToStripedShuffleOpEdEvPT2_S3_b,"axG",@progbits,_Z20warp_exchange_kernelILj4ELj64EN6common25BlockedToStripedShuffleOpEdEvPT2_S3_b,comdat
	.protected	_Z20warp_exchange_kernelILj4ELj64EN6common25BlockedToStripedShuffleOpEdEvPT2_S3_b ; -- Begin function _Z20warp_exchange_kernelILj4ELj64EN6common25BlockedToStripedShuffleOpEdEvPT2_S3_b
	.globl	_Z20warp_exchange_kernelILj4ELj64EN6common25BlockedToStripedShuffleOpEdEvPT2_S3_b
	.p2align	8
	.type	_Z20warp_exchange_kernelILj4ELj64EN6common25BlockedToStripedShuffleOpEdEvPT2_S3_b,@function
_Z20warp_exchange_kernelILj4ELj64EN6common25BlockedToStripedShuffleOpEdEvPT2_S3_b: ; @_Z20warp_exchange_kernelILj4ELj64EN6common25BlockedToStripedShuffleOpEdEvPT2_S3_b
; %bb.0:
	s_load_dwordx4 s[4:7], s[0:1], 0x0
	s_load_dword s2, s[0:1], 0x10
	v_lshlrev_b32_e32 v1, 5, v0
	v_lshlrev_b32_e32 v0, 2, v0
	s_waitcnt lgkmcnt(0)
	global_load_dwordx4 v[6:9], v1, s[4:5]
	global_load_dwordx4 v[2:5], v1, s[4:5] offset:16
	v_mbcnt_lo_u32_b32 v1, -1, 0
	v_mbcnt_hi_u32_b32 v1, -1, v1
	v_lshrrev_b32_e32 v10, 2, v1
	v_and_b32_e32 v11, 64, v1
	v_and_b32_e32 v1, 3, v1
	s_bitcmp0_b32 s2, 0
	v_cmp_eq_u32_e64 s[0:1], 3, v1
	v_cmp_eq_u32_e64 s[2:3], 2, v1
	;; [unrolled: 1-line block ×3, first 2 shown]
	v_or_b32_e32 v1, v10, v11
	v_lshlrev_b32_e32 v13, 2, v1
	v_add_u32_e32 v14, 16, v10
	v_add_u32_e32 v12, 48, v10
	v_lshlrev_b32_e32 v10, 3, v0
	s_cbranch_scc0 .LBB42_2
; %bb.1:
	s_waitcnt vmcnt(1)
	ds_bpermute_b32 v0, v13, v7
	ds_bpermute_b32 v1, v13, v9
	;; [unrolled: 1-line block ×4, first 2 shown]
	s_waitcnt vmcnt(0)
	ds_bpermute_b32 v17, v13, v2
	ds_bpermute_b32 v18, v13, v5
	s_waitcnt lgkmcnt(4)
	v_cndmask_b32_e64 v0, v0, v1, s[4:5]
	ds_bpermute_b32 v1, v13, v3
	ds_bpermute_b32 v19, v13, v4
	s_waitcnt lgkmcnt(4)
	v_cndmask_b32_e64 v15, v15, v16, s[4:5]
	s_waitcnt lgkmcnt(3)
	v_cndmask_b32_e64 v15, v15, v17, s[2:3]
	;; [unrolled: 2-line block ×3, first 2 shown]
	v_cndmask_b32_e64 v17, v0, v18, s[0:1]
	v_or_b32_e32 v0, v14, v11
	v_lshlrev_b32_e32 v0, 2, v0
	s_waitcnt lgkmcnt(0)
	v_cndmask_b32_e64 v16, v15, v19, s[0:1]
	ds_bpermute_b32 v1, v0, v7
	ds_bpermute_b32 v15, v0, v9
	ds_bpermute_b32 v21, v0, v3
	ds_bpermute_b32 v18, v0, v6
	ds_bpermute_b32 v19, v0, v8
	ds_bpermute_b32 v20, v0, v2
	s_waitcnt lgkmcnt(4)
	v_cndmask_b32_e64 v1, v1, v15, s[4:5]
	ds_bpermute_b32 v15, v0, v5
	s_waitcnt lgkmcnt(4)
	v_cndmask_b32_e64 v1, v1, v21, s[2:3]
	s_waitcnt lgkmcnt(2)
	v_cndmask_b32_e64 v18, v18, v19, s[4:5]
	;; [unrolled: 2-line block ×3, first 2 shown]
	ds_bpermute_b32 v0, v0, v4
	s_waitcnt lgkmcnt(1)
	v_cndmask_b32_e64 v19, v1, v15, s[0:1]
	v_xor_b32_e32 v1, 0x80, v13
	ds_bpermute_b32 v20, v1, v7
	ds_bpermute_b32 v21, v1, v9
	;; [unrolled: 1-line block ×6, first 2 shown]
	s_waitcnt lgkmcnt(6)
	v_cndmask_b32_e64 v18, v18, v0, s[0:1]
	s_waitcnt lgkmcnt(4)
	v_cndmask_b32_e64 v0, v20, v21, s[4:5]
	v_and_or_b32 v21, v12, 63, v11
	s_waitcnt lgkmcnt(2)
	v_cndmask_b32_e64 v15, v15, v22, s[4:5]
	ds_bpermute_b32 v20, v1, v4
	ds_bpermute_b32 v1, v1, v5
	v_lshlrev_b32_e32 v22, 2, v21
	s_waitcnt lgkmcnt(3)
	v_cndmask_b32_e64 v15, v15, v23, s[2:3]
	s_waitcnt lgkmcnt(2)
	v_cndmask_b32_e64 v0, v0, v24, s[2:3]
	ds_bpermute_b32 v23, v22, v7
	ds_bpermute_b32 v24, v22, v9
	s_waitcnt lgkmcnt(2)
	v_cndmask_b32_e64 v21, v0, v1, s[0:1]
	ds_bpermute_b32 v0, v22, v6
	ds_bpermute_b32 v1, v22, v8
	v_cndmask_b32_e64 v20, v15, v20, s[0:1]
	s_waitcnt lgkmcnt(2)
	v_cndmask_b32_e64 v15, v23, v24, s[4:5]
	ds_bpermute_b32 v23, v22, v2
	ds_bpermute_b32 v24, v22, v3
	;; [unrolled: 1-line block ×4, first 2 shown]
	s_waitcnt lgkmcnt(4)
	v_cndmask_b32_e64 v0, v0, v1, s[4:5]
	s_waitcnt lgkmcnt(3)
	v_cndmask_b32_e64 v0, v0, v23, s[2:3]
	;; [unrolled: 2-line block ×5, first 2 shown]
	global_store_dwordx4 v10, v[16:19], s[6:7]
	global_store_dwordx2 v10, v[20:21], s[6:7] offset:16
	s_cbranch_execz .LBB42_3
	s_branch .LBB42_4
.LBB42_2:
                                        ; implicit-def: $vgpr0_vgpr1
.LBB42_3:
	s_waitcnt vmcnt(1)
	ds_bpermute_b32 v0, v13, v7
	ds_bpermute_b32 v1, v13, v9
	;; [unrolled: 1-line block ×4, first 2 shown]
	s_waitcnt vmcnt(0)
	ds_bpermute_b32 v17, v13, v2
	ds_bpermute_b32 v18, v13, v5
	s_waitcnt lgkmcnt(4)
	v_cndmask_b32_e64 v0, v0, v1, s[4:5]
	ds_bpermute_b32 v1, v13, v3
	s_waitcnt lgkmcnt(3)
	v_cndmask_b32_e64 v15, v15, v16, s[4:5]
	s_waitcnt lgkmcnt(2)
	v_cndmask_b32_e64 v15, v15, v17, s[2:3]
	ds_bpermute_b32 v19, v13, v4
	s_waitcnt lgkmcnt(1)
	v_cndmask_b32_e64 v0, v0, v1, s[2:3]
	v_cndmask_b32_e64 v17, v0, v18, s[0:1]
	v_or_b32_e32 v0, v14, v11
	v_lshlrev_b32_e32 v0, 2, v0
	ds_bpermute_b32 v1, v0, v7
	ds_bpermute_b32 v14, v0, v9
	s_waitcnt lgkmcnt(2)
	v_cndmask_b32_e64 v16, v15, v19, s[0:1]
	ds_bpermute_b32 v15, v0, v6
	ds_bpermute_b32 v18, v0, v8
	ds_bpermute_b32 v20, v0, v3
	ds_bpermute_b32 v19, v0, v2
	s_waitcnt lgkmcnt(4)
	v_cndmask_b32_e64 v1, v1, v14, s[4:5]
	ds_bpermute_b32 v14, v0, v5
	ds_bpermute_b32 v0, v0, v4
	s_waitcnt lgkmcnt(4)
	v_cndmask_b32_e64 v15, v15, v18, s[4:5]
	s_waitcnt lgkmcnt(3)
	v_cndmask_b32_e64 v1, v1, v20, s[2:3]
	;; [unrolled: 2-line block ×4, first 2 shown]
	v_xor_b32_e32 v1, 0x80, v13
	ds_bpermute_b32 v14, v1, v7
	ds_bpermute_b32 v20, v1, v9
	;; [unrolled: 1-line block ×6, first 2 shown]
	s_waitcnt lgkmcnt(6)
	v_cndmask_b32_e64 v18, v15, v0, s[0:1]
	ds_bpermute_b32 v15, v1, v4
	ds_bpermute_b32 v1, v1, v5
	s_waitcnt lgkmcnt(6)
	v_cndmask_b32_e64 v0, v14, v20, s[4:5]
	v_and_or_b32 v11, v12, 63, v11
	s_waitcnt lgkmcnt(4)
	v_cndmask_b32_e64 v13, v13, v21, s[4:5]
	s_waitcnt lgkmcnt(3)
	v_cndmask_b32_e64 v0, v0, v23, s[2:3]
	v_lshlrev_b32_e32 v11, 2, v11
	s_waitcnt lgkmcnt(2)
	v_cndmask_b32_e64 v14, v13, v22, s[2:3]
	ds_bpermute_b32 v7, v11, v7
	ds_bpermute_b32 v9, v11, v9
	s_waitcnt lgkmcnt(2)
	v_cndmask_b32_e64 v13, v0, v1, s[0:1]
	ds_bpermute_b32 v0, v11, v6
	ds_bpermute_b32 v1, v11, v8
	;; [unrolled: 1-line block ×6, first 2 shown]
	s_waitcnt lgkmcnt(6)
	v_cndmask_b32_e64 v6, v7, v9, s[4:5]
	s_waitcnt lgkmcnt(4)
	v_cndmask_b32_e64 v0, v0, v1, s[4:5]
	;; [unrolled: 2-line block ×6, first 2 shown]
	v_cndmask_b32_e64 v12, v14, v15, s[0:1]
	global_store_dwordx4 v10, v[16:19], s[6:7]
	global_store_dwordx2 v10, v[12:13], s[6:7] offset:16
.LBB42_4:
	global_store_dwordx2 v10, v[0:1], s[6:7] offset:24
	s_endpgm
	.section	.rodata,"a",@progbits
	.p2align	6, 0x0
	.amdhsa_kernel _Z20warp_exchange_kernelILj4ELj64EN6common25BlockedToStripedShuffleOpEdEvPT2_S3_b
		.amdhsa_group_segment_fixed_size 0
		.amdhsa_private_segment_fixed_size 0
		.amdhsa_kernarg_size 20
		.amdhsa_user_sgpr_count 2
		.amdhsa_user_sgpr_dispatch_ptr 0
		.amdhsa_user_sgpr_queue_ptr 0
		.amdhsa_user_sgpr_kernarg_segment_ptr 1
		.amdhsa_user_sgpr_dispatch_id 0
		.amdhsa_user_sgpr_kernarg_preload_length 0
		.amdhsa_user_sgpr_kernarg_preload_offset 0
		.amdhsa_user_sgpr_private_segment_size 0
		.amdhsa_uses_dynamic_stack 0
		.amdhsa_enable_private_segment 0
		.amdhsa_system_sgpr_workgroup_id_x 1
		.amdhsa_system_sgpr_workgroup_id_y 0
		.amdhsa_system_sgpr_workgroup_id_z 0
		.amdhsa_system_sgpr_workgroup_info 0
		.amdhsa_system_vgpr_workitem_id 0
		.amdhsa_next_free_vgpr 26
		.amdhsa_next_free_sgpr 8
		.amdhsa_accum_offset 28
		.amdhsa_reserve_vcc 0
		.amdhsa_float_round_mode_32 0
		.amdhsa_float_round_mode_16_64 0
		.amdhsa_float_denorm_mode_32 3
		.amdhsa_float_denorm_mode_16_64 3
		.amdhsa_dx10_clamp 1
		.amdhsa_ieee_mode 1
		.amdhsa_fp16_overflow 0
		.amdhsa_tg_split 0
		.amdhsa_exception_fp_ieee_invalid_op 0
		.amdhsa_exception_fp_denorm_src 0
		.amdhsa_exception_fp_ieee_div_zero 0
		.amdhsa_exception_fp_ieee_overflow 0
		.amdhsa_exception_fp_ieee_underflow 0
		.amdhsa_exception_fp_ieee_inexact 0
		.amdhsa_exception_int_div_zero 0
	.end_amdhsa_kernel
	.section	.text._Z20warp_exchange_kernelILj4ELj64EN6common25BlockedToStripedShuffleOpEdEvPT2_S3_b,"axG",@progbits,_Z20warp_exchange_kernelILj4ELj64EN6common25BlockedToStripedShuffleOpEdEvPT2_S3_b,comdat
.Lfunc_end42:
	.size	_Z20warp_exchange_kernelILj4ELj64EN6common25BlockedToStripedShuffleOpEdEvPT2_S3_b, .Lfunc_end42-_Z20warp_exchange_kernelILj4ELj64EN6common25BlockedToStripedShuffleOpEdEvPT2_S3_b
                                        ; -- End function
	.section	.AMDGPU.csdata,"",@progbits
; Kernel info:
; codeLenInByte = 1320
; NumSgprs: 14
; NumVgprs: 26
; NumAgprs: 0
; TotalNumVgprs: 26
; ScratchSize: 0
; MemoryBound: 0
; FloatMode: 240
; IeeeMode: 1
; LDSByteSize: 0 bytes/workgroup (compile time only)
; SGPRBlocks: 1
; VGPRBlocks: 3
; NumSGPRsForWavesPerEU: 14
; NumVGPRsForWavesPerEU: 26
; AccumOffset: 28
; Occupancy: 8
; WaveLimiterHint : 0
; COMPUTE_PGM_RSRC2:SCRATCH_EN: 0
; COMPUTE_PGM_RSRC2:USER_SGPR: 2
; COMPUTE_PGM_RSRC2:TRAP_HANDLER: 0
; COMPUTE_PGM_RSRC2:TGID_X_EN: 1
; COMPUTE_PGM_RSRC2:TGID_Y_EN: 0
; COMPUTE_PGM_RSRC2:TGID_Z_EN: 0
; COMPUTE_PGM_RSRC2:TIDIG_COMP_CNT: 0
; COMPUTE_PGM_RSRC3_GFX90A:ACCUM_OFFSET: 6
; COMPUTE_PGM_RSRC3_GFX90A:TG_SPLIT: 0
	.section	.text._Z20warp_exchange_kernelILj4ELj32EN6common25BlockedToStripedShuffleOpEfEvPT2_S3_b,"axG",@progbits,_Z20warp_exchange_kernelILj4ELj32EN6common25BlockedToStripedShuffleOpEfEvPT2_S3_b,comdat
	.protected	_Z20warp_exchange_kernelILj4ELj32EN6common25BlockedToStripedShuffleOpEfEvPT2_S3_b ; -- Begin function _Z20warp_exchange_kernelILj4ELj32EN6common25BlockedToStripedShuffleOpEfEvPT2_S3_b
	.globl	_Z20warp_exchange_kernelILj4ELj32EN6common25BlockedToStripedShuffleOpEfEvPT2_S3_b
	.p2align	8
	.type	_Z20warp_exchange_kernelILj4ELj32EN6common25BlockedToStripedShuffleOpEfEvPT2_S3_b,@function
_Z20warp_exchange_kernelILj4ELj32EN6common25BlockedToStripedShuffleOpEfEvPT2_S3_b: ; @_Z20warp_exchange_kernelILj4ELj32EN6common25BlockedToStripedShuffleOpEfEvPT2_S3_b
; %bb.0:
	s_load_dwordx4 s[4:7], s[0:1], 0x0
	s_load_dword s2, s[0:1], 0x10
	v_lshlrev_b32_e32 v1, 4, v0
	s_movk_i32 s8, 0x180
	v_lshlrev_b32_e32 v0, 2, v0
	s_waitcnt lgkmcnt(0)
	global_load_dwordx4 v[2:5], v1, s[4:5]
	v_mbcnt_lo_u32_b32 v1, -1, 0
	v_mbcnt_hi_u32_b32 v1, -1, v1
	v_and_b32_e32 v6, 3, v1
	s_bitcmp0_b32 s2, 0
	v_cmp_eq_u32_e64 s[0:1], 3, v6
	v_cmp_eq_u32_e64 s[2:3], 2, v6
	;; [unrolled: 1-line block ×3, first 2 shown]
	v_lshlrev_b32_e32 v6, 2, v1
	v_and_b32_e32 v1, 28, v1
	v_and_or_b32 v1, v6, s8, v1
	v_or_b32_e32 v10, 32, v1
	s_cbranch_scc0 .LBB43_2
; %bb.1:
	s_waitcnt vmcnt(0)
	ds_bpermute_b32 v6, v1, v2
	ds_bpermute_b32 v7, v1, v3
	;; [unrolled: 1-line block ×6, first 2 shown]
	s_waitcnt lgkmcnt(4)
	v_cndmask_b32_e64 v6, v6, v7, s[4:5]
	ds_bpermute_b32 v7, v10, v3
	s_waitcnt lgkmcnt(4)
	v_cndmask_b32_e64 v6, v6, v8, s[2:3]
	ds_bpermute_b32 v8, v10, v4
	ds_bpermute_b32 v13, v1, v2 offset:64
	ds_bpermute_b32 v14, v1, v3 offset:64
	s_waitcnt lgkmcnt(3)
	v_cndmask_b32_e64 v7, v11, v7, s[4:5]
	v_cndmask_b32_e64 v6, v6, v9, s[0:1]
	s_waitcnt lgkmcnt(2)
	v_cndmask_b32_e64 v7, v7, v8, s[2:3]
	v_cndmask_b32_e64 v7, v7, v12, s[0:1]
	s_waitcnt lgkmcnt(0)
	v_cndmask_b32_e64 v8, v13, v14, s[4:5]
	ds_bpermute_b32 v9, v1, v4 offset:64
	ds_bpermute_b32 v12, v1, v2 offset:96
	ds_bpermute_b32 v13, v1, v3 offset:96
	ds_bpermute_b32 v14, v1, v4 offset:96
	ds_bpermute_b32 v11, v1, v5 offset:64
	ds_bpermute_b32 v15, v1, v5 offset:96
	s_waitcnt lgkmcnt(5)
	v_cndmask_b32_e64 v8, v8, v9, s[2:3]
	s_waitcnt lgkmcnt(3)
	v_cndmask_b32_e64 v9, v12, v13, s[4:5]
	;; [unrolled: 2-line block ×5, first 2 shown]
	s_cbranch_execz .LBB43_3
	s_branch .LBB43_4
.LBB43_2:
                                        ; implicit-def: $vgpr6_vgpr7_vgpr8_vgpr9
.LBB43_3:
	s_waitcnt vmcnt(0)
	ds_bpermute_b32 v6, v1, v2
	ds_bpermute_b32 v7, v1, v3
	;; [unrolled: 1-line block ×5, first 2 shown]
	ds_bpermute_b32 v12, v1, v2 offset:64
	s_waitcnt lgkmcnt(4)
	v_cndmask_b32_e64 v6, v6, v7, s[4:5]
	ds_bpermute_b32 v7, v10, v3
	s_waitcnt lgkmcnt(4)
	v_cndmask_b32_e64 v6, v6, v8, s[2:3]
	ds_bpermute_b32 v8, v10, v4
	ds_bpermute_b32 v10, v10, v5
	ds_bpermute_b32 v13, v1, v3 offset:64
	s_waitcnt lgkmcnt(3)
	v_cndmask_b32_e64 v7, v11, v7, s[4:5]
	ds_bpermute_b32 v2, v1, v2 offset:96
	ds_bpermute_b32 v3, v1, v3 offset:96
	v_cndmask_b32_e64 v6, v6, v9, s[0:1]
	s_waitcnt lgkmcnt(4)
	v_cndmask_b32_e64 v7, v7, v8, s[2:3]
	ds_bpermute_b32 v9, v1, v4 offset:64
	ds_bpermute_b32 v4, v1, v4 offset:96
	s_waitcnt lgkmcnt(5)
	v_cndmask_b32_e64 v7, v7, v10, s[0:1]
	ds_bpermute_b32 v10, v1, v5 offset:64
	ds_bpermute_b32 v1, v1, v5 offset:96
	s_waitcnt lgkmcnt(6)
	v_cndmask_b32_e64 v8, v12, v13, s[4:5]
	s_waitcnt lgkmcnt(4)
	v_cndmask_b32_e64 v2, v2, v3, s[4:5]
	;; [unrolled: 2-line block ×6, first 2 shown]
.LBB43_4:
	v_lshlrev_b32_e32 v0, 2, v0
	global_store_dwordx4 v0, v[6:9], s[6:7]
	s_endpgm
	.section	.rodata,"a",@progbits
	.p2align	6, 0x0
	.amdhsa_kernel _Z20warp_exchange_kernelILj4ELj32EN6common25BlockedToStripedShuffleOpEfEvPT2_S3_b
		.amdhsa_group_segment_fixed_size 0
		.amdhsa_private_segment_fixed_size 0
		.amdhsa_kernarg_size 20
		.amdhsa_user_sgpr_count 2
		.amdhsa_user_sgpr_dispatch_ptr 0
		.amdhsa_user_sgpr_queue_ptr 0
		.amdhsa_user_sgpr_kernarg_segment_ptr 1
		.amdhsa_user_sgpr_dispatch_id 0
		.amdhsa_user_sgpr_kernarg_preload_length 0
		.amdhsa_user_sgpr_kernarg_preload_offset 0
		.amdhsa_user_sgpr_private_segment_size 0
		.amdhsa_uses_dynamic_stack 0
		.amdhsa_enable_private_segment 0
		.amdhsa_system_sgpr_workgroup_id_x 1
		.amdhsa_system_sgpr_workgroup_id_y 0
		.amdhsa_system_sgpr_workgroup_id_z 0
		.amdhsa_system_sgpr_workgroup_info 0
		.amdhsa_system_vgpr_workitem_id 0
		.amdhsa_next_free_vgpr 16
		.amdhsa_next_free_sgpr 9
		.amdhsa_accum_offset 16
		.amdhsa_reserve_vcc 0
		.amdhsa_float_round_mode_32 0
		.amdhsa_float_round_mode_16_64 0
		.amdhsa_float_denorm_mode_32 3
		.amdhsa_float_denorm_mode_16_64 3
		.amdhsa_dx10_clamp 1
		.amdhsa_ieee_mode 1
		.amdhsa_fp16_overflow 0
		.amdhsa_tg_split 0
		.amdhsa_exception_fp_ieee_invalid_op 0
		.amdhsa_exception_fp_denorm_src 0
		.amdhsa_exception_fp_ieee_div_zero 0
		.amdhsa_exception_fp_ieee_overflow 0
		.amdhsa_exception_fp_ieee_underflow 0
		.amdhsa_exception_fp_ieee_inexact 0
		.amdhsa_exception_int_div_zero 0
	.end_amdhsa_kernel
	.section	.text._Z20warp_exchange_kernelILj4ELj32EN6common25BlockedToStripedShuffleOpEfEvPT2_S3_b,"axG",@progbits,_Z20warp_exchange_kernelILj4ELj32EN6common25BlockedToStripedShuffleOpEfEvPT2_S3_b,comdat
.Lfunc_end43:
	.size	_Z20warp_exchange_kernelILj4ELj32EN6common25BlockedToStripedShuffleOpEfEvPT2_S3_b, .Lfunc_end43-_Z20warp_exchange_kernelILj4ELj32EN6common25BlockedToStripedShuffleOpEfEvPT2_S3_b
                                        ; -- End function
	.section	.AMDGPU.csdata,"",@progbits
; Kernel info:
; codeLenInByte = 676
; NumSgprs: 15
; NumVgprs: 16
; NumAgprs: 0
; TotalNumVgprs: 16
; ScratchSize: 0
; MemoryBound: 0
; FloatMode: 240
; IeeeMode: 1
; LDSByteSize: 0 bytes/workgroup (compile time only)
; SGPRBlocks: 1
; VGPRBlocks: 1
; NumSGPRsForWavesPerEU: 15
; NumVGPRsForWavesPerEU: 16
; AccumOffset: 16
; Occupancy: 8
; WaveLimiterHint : 0
; COMPUTE_PGM_RSRC2:SCRATCH_EN: 0
; COMPUTE_PGM_RSRC2:USER_SGPR: 2
; COMPUTE_PGM_RSRC2:TRAP_HANDLER: 0
; COMPUTE_PGM_RSRC2:TGID_X_EN: 1
; COMPUTE_PGM_RSRC2:TGID_Y_EN: 0
; COMPUTE_PGM_RSRC2:TGID_Z_EN: 0
; COMPUTE_PGM_RSRC2:TIDIG_COMP_CNT: 0
; COMPUTE_PGM_RSRC3_GFX90A:ACCUM_OFFSET: 3
; COMPUTE_PGM_RSRC3_GFX90A:TG_SPLIT: 0
	.section	.text._Z20warp_exchange_kernelILj4ELj8EN6common25BlockedToStripedShuffleOpElEvPT2_S3_b,"axG",@progbits,_Z20warp_exchange_kernelILj4ELj8EN6common25BlockedToStripedShuffleOpElEvPT2_S3_b,comdat
	.protected	_Z20warp_exchange_kernelILj4ELj8EN6common25BlockedToStripedShuffleOpElEvPT2_S3_b ; -- Begin function _Z20warp_exchange_kernelILj4ELj8EN6common25BlockedToStripedShuffleOpElEvPT2_S3_b
	.globl	_Z20warp_exchange_kernelILj4ELj8EN6common25BlockedToStripedShuffleOpElEvPT2_S3_b
	.p2align	8
	.type	_Z20warp_exchange_kernelILj4ELj8EN6common25BlockedToStripedShuffleOpElEvPT2_S3_b,@function
_Z20warp_exchange_kernelILj4ELj8EN6common25BlockedToStripedShuffleOpElEvPT2_S3_b: ; @_Z20warp_exchange_kernelILj4ELj8EN6common25BlockedToStripedShuffleOpElEvPT2_S3_b
; %bb.0:
	s_load_dwordx4 s[8:11], s[0:1], 0x0
	s_load_dword s2, s[0:1], 0x10
	v_lshlrev_b32_e32 v1, 5, v0
	v_lshlrev_b32_e32 v0, 2, v0
	s_waitcnt lgkmcnt(0)
	global_load_dwordx4 v[6:9], v1, s[8:9] offset:16
	global_load_dwordx4 v[2:5], v1, s[8:9]
	v_mbcnt_lo_u32_b32 v1, -1, 0
	s_bitcmp0_b32 s2, 0
	v_mbcnt_hi_u32_b32 v1, -1, v1
	s_cbranch_scc0 .LBB44_2
; %bb.1:
	v_and_b32_e32 v16, 3, v1
	s_waitcnt vmcnt(0)
	v_mov_b32_dpp v10, v4 quad_perm:[3,0,1,2] row_mask:0xf bank_mask:0xf
	v_cmp_eq_u32_e32 vcc, 1, v16
	v_mov_b32_dpp v12, v6 quad_perm:[2,3,0,1] row_mask:0xf bank_mask:0xf
	v_cmp_eq_u32_e64 s[0:1], 2, v16
	v_cndmask_b32_e32 v17, v2, v10, vcc
	v_add_u32_e32 v19, -1, v1
	v_mov_b32_dpp v11, v5 quad_perm:[3,0,1,2] row_mask:0xf bank_mask:0xf
	v_mov_b32_dpp v14, v8 quad_perm:[1,2,3,0] row_mask:0xf bank_mask:0xf
	v_cndmask_b32_e64 v17, v17, v12, s[0:1]
	v_cmp_eq_u32_e64 s[2:3], 3, v16
	v_and_b32_e32 v19, 3, v19
	v_mov_b32_dpp v13, v7 quad_perm:[2,3,0,1] row_mask:0xf bank_mask:0xf
	v_cndmask_b32_e64 v18, v17, v14, s[2:3]
	v_cndmask_b32_e32 v17, v3, v11, vcc
	v_cmp_eq_u32_e32 vcc, 1, v19
	v_mov_b32_dpp v15, v9 quad_perm:[1,2,3,0] row_mask:0xf bank_mask:0xf
	v_cndmask_b32_e64 v17, v17, v13, s[0:1]
	v_cndmask_b32_e32 v20, v3, v11, vcc
	v_cmp_eq_u32_e64 s[0:1], 2, v19
	v_cndmask_b32_e64 v17, v17, v15, s[2:3]
	v_cmp_eq_u32_e64 s[2:3], 3, v19
	v_cndmask_b32_e64 v20, v20, v13, s[0:1]
	v_xor_b32_e32 v16, 2, v16
	v_cndmask_b32_e64 v19, v20, v15, s[2:3]
	v_cndmask_b32_e32 v20, v2, v10, vcc
	v_cndmask_b32_e64 v20, v20, v12, s[0:1]
	v_cndmask_b32_e64 v20, v20, v14, s[2:3]
	v_cmp_eq_u32_e32 vcc, 1, v16
	v_cmp_eq_u32_e64 s[0:1], 2, v16
	v_cmp_eq_u32_e64 s[2:3], 3, v16
	v_add_u32_e32 v16, -1, v16
	v_and_b32_e32 v16, 3, v16
	v_cndmask_b32_e32 v21, v3, v11, vcc
	v_cndmask_b32_e32 v22, v2, v10, vcc
	v_cmp_eq_u32_e32 vcc, 1, v16
	v_cndmask_b32_e64 v21, v21, v13, s[0:1]
	v_cndmask_b32_e64 v22, v22, v12, s[0:1]
	v_cndmask_b32_e32 v11, v3, v11, vcc
	v_cmp_eq_u32_e64 s[0:1], 2, v16
	v_cndmask_b32_e64 v21, v21, v15, s[2:3]
	v_cndmask_b32_e64 v22, v22, v14, s[2:3]
	;; [unrolled: 1-line block ×3, first 2 shown]
	v_cmp_eq_u32_e64 s[2:3], 3, v16
	v_cndmask_b32_e32 v10, v2, v10, vcc
	v_cndmask_b32_e64 v10, v10, v12, s[0:1]
	v_cndmask_b32_e64 v11, v11, v15, s[2:3]
	v_lshlrev_b32_e32 v15, 2, v1
	v_mov_b32_dpp v12, v20 quad_perm:[1,2,3,0] row_mask:0xf bank_mask:0xf
	v_mov_b32_dpp v13, v19 quad_perm:[1,2,3,0] row_mask:0xf bank_mask:0xf
	v_xor_b32_e32 v20, 16, v15
	ds_bpermute_b32 v15, v20, v13
	v_cndmask_b32_e64 v10, v10, v14, s[2:3]
	v_mov_b32_dpp v11, v11 quad_perm:[3,0,1,2] row_mask:0xf bank_mask:0xf
	ds_bpermute_b32 v12, v20, v12
	v_mov_b32_dpp v10, v10 quad_perm:[3,0,1,2] row_mask:0xf bank_mask:0xf
	ds_bpermute_b32 v16, v20, v11
	;; [unrolled: 2-line block ×3, first 2 shown]
	v_and_b32_e32 v10, 4, v1
	v_mov_b32_dpp v19, v22 quad_perm:[2,3,0,1] row_mask:0xf bank_mask:0xf
	v_bfe_u32 v22, v1, 2, 1
	v_cmp_ne_u32_e32 vcc, 0, v10
	v_cmp_eq_u32_e64 s[0:1], 2, v22
	v_cmp_eq_u32_e64 s[2:3], 3, v22
	s_waitcnt lgkmcnt(3)
	v_cndmask_b32_e32 v10, v17, v15, vcc
	v_cndmask_b32_e64 v10, v10, v14, s[0:1]
	s_waitcnt lgkmcnt(1)
	v_cndmask_b32_e64 v11, v10, v16, s[2:3]
	v_cndmask_b32_e32 v10, v18, v12, vcc
	v_or_b32_e32 v13, 2, v22
	v_cndmask_b32_e64 v10, v10, v19, s[0:1]
	v_cmp_eq_u32_e64 s[0:1], 1, v13
	s_waitcnt lgkmcnt(0)
	v_cndmask_b32_e64 v10, v10, v21, s[2:3]
	v_cmp_eq_u32_e64 s[2:3], 2, v13
	v_cndmask_b32_e64 v23, v17, v15, s[0:1]
	v_cmp_eq_u32_e64 s[4:5], 3, v13
	v_cndmask_b32_e64 v23, v23, v14, s[2:3]
	v_cndmask_b32_e32 v24, v15, v17, vcc
	v_cndmask_b32_e64 v13, v23, v16, s[4:5]
	v_xor_b32_e32 v23, 1, v22
	v_cmp_eq_u32_e64 s[6:7], 2, v23
	v_cmp_eq_u32_e64 s[8:9], 3, v23
	v_xor_b32_e32 v22, 3, v22
	v_cndmask_b32_e64 v24, v24, v14, s[6:7]
	v_cndmask_b32_e64 v23, v24, v16, s[8:9]
	v_cndmask_b32_e32 v24, v12, v18, vcc
	v_cmp_eq_u32_e32 vcc, 1, v22
	v_cndmask_b32_e64 v24, v24, v19, s[6:7]
	v_cmp_eq_u32_e64 s[6:7], 2, v22
	v_cndmask_b32_e32 v15, v17, v15, vcc
	v_cndmask_b32_e64 v24, v24, v21, s[8:9]
	v_cndmask_b32_e64 v14, v15, v14, s[6:7]
	v_cmp_eq_u32_e64 s[8:9], 3, v22
	ds_bpermute_b32 v15, v20, v23
	s_nop 0
	v_cndmask_b32_e64 v17, v14, v16, s[8:9]
	v_cndmask_b32_e32 v14, v18, v12, vcc
	v_cndmask_b32_e64 v14, v14, v19, s[6:7]
	v_cndmask_b32_e64 v12, v18, v12, s[0:1]
	;; [unrolled: 1-line block ×4, first 2 shown]
	ds_bpermute_b32 v14, v20, v24
	ds_bpermute_b32 v16, v20, v16
	;; [unrolled: 1-line block ×3, first 2 shown]
	v_cndmask_b32_e64 v12, v12, v21, s[4:5]
	s_cbranch_execz .LBB44_3
	s_branch .LBB44_4
.LBB44_2:
                                        ; implicit-def: $vgpr14_vgpr15
                                        ; implicit-def: $vgpr12_vgpr13
.LBB44_3:
	v_and_b32_e32 v10, 3, v1
	s_waitcnt vmcnt(0)
	v_mov_b32_dpp v4, v4 quad_perm:[3,0,1,2] row_mask:0xf bank_mask:0xf
	v_cmp_eq_u32_e32 vcc, 1, v10
	v_mov_b32_dpp v6, v6 quad_perm:[2,3,0,1] row_mask:0xf bank_mask:0xf
	v_cmp_eq_u32_e64 s[0:1], 2, v10
	v_cndmask_b32_e32 v11, v2, v4, vcc
	v_mov_b32_dpp v5, v5 quad_perm:[3,0,1,2] row_mask:0xf bank_mask:0xf
	v_mov_b32_dpp v8, v8 quad_perm:[1,2,3,0] row_mask:0xf bank_mask:0xf
	v_cndmask_b32_e64 v11, v11, v6, s[0:1]
	v_cmp_eq_u32_e64 s[2:3], 3, v10
	v_mov_b32_dpp v7, v7 quad_perm:[2,3,0,1] row_mask:0xf bank_mask:0xf
	v_mov_b32_dpp v9, v9 quad_perm:[1,2,3,0] row_mask:0xf bank_mask:0xf
	v_cndmask_b32_e64 v12, v11, v8, s[2:3]
	v_cndmask_b32_e32 v11, v3, v5, vcc
	v_cndmask_b32_e64 v11, v11, v7, s[0:1]
	v_cndmask_b32_e64 v13, v11, v9, s[2:3]
	v_add_u32_e32 v11, -1, v1
	v_and_b32_e32 v11, 3, v11
	v_cmp_eq_u32_e32 vcc, 1, v11
	v_cmp_eq_u32_e64 s[0:1], 2, v11
	v_cmp_eq_u32_e64 s[2:3], 3, v11
	s_waitcnt lgkmcnt(2)
	v_cndmask_b32_e32 v14, v3, v5, vcc
	v_cndmask_b32_e64 v14, v14, v7, s[0:1]
	v_cndmask_b32_e64 v11, v14, v9, s[2:3]
	v_cndmask_b32_e32 v14, v2, v4, vcc
	v_cndmask_b32_e64 v14, v14, v6, s[0:1]
	v_xor_b32_e32 v10, 2, v10
	v_cndmask_b32_e64 v14, v14, v8, s[2:3]
	v_cmp_eq_u32_e32 vcc, 1, v10
	v_cmp_eq_u32_e64 s[0:1], 2, v10
	v_cmp_eq_u32_e64 s[2:3], 3, v10
	v_add_u32_e32 v10, -1, v10
	v_and_b32_e32 v10, 3, v10
	v_cndmask_b32_e32 v15, v3, v5, vcc
	s_waitcnt lgkmcnt(1)
	v_cndmask_b32_e32 v16, v2, v4, vcc
	v_cmp_eq_u32_e32 vcc, 1, v10
	v_cndmask_b32_e64 v15, v15, v7, s[0:1]
	v_cndmask_b32_e64 v16, v16, v6, s[0:1]
	v_cmp_eq_u32_e64 s[0:1], 2, v10
	v_cndmask_b32_e32 v2, v2, v4, vcc
	v_cndmask_b32_e64 v15, v15, v9, s[2:3]
	v_cndmask_b32_e64 v16, v16, v8, s[2:3]
	v_cmp_eq_u32_e64 s[2:3], 3, v10
	v_cndmask_b32_e64 v2, v2, v6, s[0:1]
	v_cndmask_b32_e32 v3, v3, v5, vcc
	v_cndmask_b32_e64 v2, v2, v8, s[2:3]
	v_lshlrev_b32_e32 v8, 2, v1
	v_cndmask_b32_e64 v3, v3, v7, s[0:1]
	v_mov_b32_dpp v5, v11 quad_perm:[1,2,3,0] row_mask:0xf bank_mask:0xf
	v_xor_b32_e32 v8, 16, v8
	v_cndmask_b32_e64 v3, v3, v9, s[2:3]
	ds_bpermute_b32 v5, v8, v5
	v_mov_b32_dpp v4, v14 quad_perm:[1,2,3,0] row_mask:0xf bank_mask:0xf
	v_mov_b32_dpp v3, v3 quad_perm:[3,0,1,2] row_mask:0xf bank_mask:0xf
	ds_bpermute_b32 v4, v8, v4
	ds_bpermute_b32 v3, v8, v3
	v_mov_b32_dpp v2, v2 quad_perm:[3,0,1,2] row_mask:0xf bank_mask:0xf
	v_bfe_u32 v9, v1, 2, 1
	v_and_b32_e32 v1, 4, v1
	ds_bpermute_b32 v2, v8, v2
	v_cmp_ne_u32_e32 vcc, 0, v1
	v_mov_b32_dpp v7, v15 quad_perm:[2,3,0,1] row_mask:0xf bank_mask:0xf
	v_cmp_eq_u32_e64 s[0:1], 2, v9
	s_waitcnt lgkmcnt(3)
	v_cndmask_b32_e32 v1, v13, v5, vcc
	v_cmp_eq_u32_e64 s[2:3], 3, v9
	v_cndmask_b32_e64 v1, v1, v7, s[0:1]
	v_mov_b32_dpp v6, v16 quad_perm:[2,3,0,1] row_mask:0xf bank_mask:0xf
	s_waitcnt lgkmcnt(1)
	v_cndmask_b32_e64 v11, v1, v3, s[2:3]
	v_cndmask_b32_e32 v1, v12, v4, vcc
	v_cndmask_b32_e64 v1, v1, v6, s[0:1]
	s_waitcnt lgkmcnt(0)
	v_cndmask_b32_e64 v10, v1, v2, s[2:3]
	v_or_b32_e32 v1, 2, v9
	v_cmp_eq_u32_e64 s[0:1], 1, v1
	v_cmp_eq_u32_e64 s[2:3], 2, v1
	v_cndmask_b32_e32 v15, v5, v13, vcc
	v_cndmask_b32_e64 v14, v13, v5, s[0:1]
	v_cndmask_b32_e64 v18, v14, v7, s[2:3]
	v_xor_b32_e32 v14, 1, v9
	v_xor_b32_e32 v9, 3, v9
	v_cmp_eq_u32_e64 s[4:5], 2, v14
	v_cmp_eq_u32_e64 s[6:7], 3, v14
	v_cndmask_b32_e32 v14, v4, v12, vcc
	v_cmp_eq_u32_e32 vcc, 1, v9
	v_cndmask_b32_e64 v15, v15, v7, s[4:5]
	v_cndmask_b32_e64 v14, v14, v6, s[4:5]
	v_cndmask_b32_e32 v5, v13, v5, vcc
	v_cmp_eq_u32_e64 s[4:5], 2, v9
	v_cndmask_b32_e64 v15, v15, v3, s[6:7]
	v_cndmask_b32_e64 v14, v14, v2, s[6:7]
	;; [unrolled: 1-line block ×3, first 2 shown]
	v_cndmask_b32_e32 v7, v12, v4, vcc
	v_cmp_eq_u32_e64 s[6:7], 3, v9
	v_cndmask_b32_e64 v7, v7, v6, s[4:5]
	ds_bpermute_b32 v14, v8, v14
	v_cndmask_b32_e64 v5, v5, v3, s[6:7]
	v_cndmask_b32_e64 v7, v7, v2, s[6:7]
	ds_bpermute_b32 v15, v8, v15
	ds_bpermute_b32 v16, v8, v7
	;; [unrolled: 1-line block ×3, first 2 shown]
	v_cmp_eq_u32_e32 vcc, 3, v1
	v_cndmask_b32_e64 v1, v12, v4, s[0:1]
	v_cndmask_b32_e64 v1, v1, v6, s[2:3]
	v_cndmask_b32_e32 v13, v18, v3, vcc
	v_cndmask_b32_e32 v12, v1, v2, vcc
.LBB44_4:
	v_lshlrev_b32_e32 v0, 3, v0
	global_store_dwordx4 v0, v[10:13], s[10:11]
	s_waitcnt lgkmcnt(0)
	global_store_dwordx4 v0, v[14:17], s[10:11] offset:16
	s_endpgm
	.section	.rodata,"a",@progbits
	.p2align	6, 0x0
	.amdhsa_kernel _Z20warp_exchange_kernelILj4ELj8EN6common25BlockedToStripedShuffleOpElEvPT2_S3_b
		.amdhsa_group_segment_fixed_size 0
		.amdhsa_private_segment_fixed_size 0
		.amdhsa_kernarg_size 20
		.amdhsa_user_sgpr_count 2
		.amdhsa_user_sgpr_dispatch_ptr 0
		.amdhsa_user_sgpr_queue_ptr 0
		.amdhsa_user_sgpr_kernarg_segment_ptr 1
		.amdhsa_user_sgpr_dispatch_id 0
		.amdhsa_user_sgpr_kernarg_preload_length 0
		.amdhsa_user_sgpr_kernarg_preload_offset 0
		.amdhsa_user_sgpr_private_segment_size 0
		.amdhsa_uses_dynamic_stack 0
		.amdhsa_enable_private_segment 0
		.amdhsa_system_sgpr_workgroup_id_x 1
		.amdhsa_system_sgpr_workgroup_id_y 0
		.amdhsa_system_sgpr_workgroup_id_z 0
		.amdhsa_system_sgpr_workgroup_info 0
		.amdhsa_system_vgpr_workitem_id 0
		.amdhsa_next_free_vgpr 25
		.amdhsa_next_free_sgpr 12
		.amdhsa_accum_offset 28
		.amdhsa_reserve_vcc 1
		.amdhsa_float_round_mode_32 0
		.amdhsa_float_round_mode_16_64 0
		.amdhsa_float_denorm_mode_32 3
		.amdhsa_float_denorm_mode_16_64 3
		.amdhsa_dx10_clamp 1
		.amdhsa_ieee_mode 1
		.amdhsa_fp16_overflow 0
		.amdhsa_tg_split 0
		.amdhsa_exception_fp_ieee_invalid_op 0
		.amdhsa_exception_fp_denorm_src 0
		.amdhsa_exception_fp_ieee_div_zero 0
		.amdhsa_exception_fp_ieee_overflow 0
		.amdhsa_exception_fp_ieee_underflow 0
		.amdhsa_exception_fp_ieee_inexact 0
		.amdhsa_exception_int_div_zero 0
	.end_amdhsa_kernel
	.section	.text._Z20warp_exchange_kernelILj4ELj8EN6common25BlockedToStripedShuffleOpElEvPT2_S3_b,"axG",@progbits,_Z20warp_exchange_kernelILj4ELj8EN6common25BlockedToStripedShuffleOpElEvPT2_S3_b,comdat
.Lfunc_end44:
	.size	_Z20warp_exchange_kernelILj4ELj8EN6common25BlockedToStripedShuffleOpElEvPT2_S3_b, .Lfunc_end44-_Z20warp_exchange_kernelILj4ELj8EN6common25BlockedToStripedShuffleOpElEvPT2_S3_b
                                        ; -- End function
	.section	.AMDGPU.csdata,"",@progbits
; Kernel info:
; codeLenInByte = 1544
; NumSgprs: 18
; NumVgprs: 25
; NumAgprs: 0
; TotalNumVgprs: 25
; ScratchSize: 0
; MemoryBound: 0
; FloatMode: 240
; IeeeMode: 1
; LDSByteSize: 0 bytes/workgroup (compile time only)
; SGPRBlocks: 2
; VGPRBlocks: 3
; NumSGPRsForWavesPerEU: 18
; NumVGPRsForWavesPerEU: 25
; AccumOffset: 28
; Occupancy: 8
; WaveLimiterHint : 0
; COMPUTE_PGM_RSRC2:SCRATCH_EN: 0
; COMPUTE_PGM_RSRC2:USER_SGPR: 2
; COMPUTE_PGM_RSRC2:TRAP_HANDLER: 0
; COMPUTE_PGM_RSRC2:TGID_X_EN: 1
; COMPUTE_PGM_RSRC2:TGID_Y_EN: 0
; COMPUTE_PGM_RSRC2:TGID_Z_EN: 0
; COMPUTE_PGM_RSRC2:TIDIG_COMP_CNT: 0
; COMPUTE_PGM_RSRC3_GFX90A:ACCUM_OFFSET: 6
; COMPUTE_PGM_RSRC3_GFX90A:TG_SPLIT: 0
	.section	.text._Z20warp_exchange_kernelILj2ELj32EN6common25BlockedToStripedShuffleOpEsEvPT2_S3_b,"axG",@progbits,_Z20warp_exchange_kernelILj2ELj32EN6common25BlockedToStripedShuffleOpEsEvPT2_S3_b,comdat
	.protected	_Z20warp_exchange_kernelILj2ELj32EN6common25BlockedToStripedShuffleOpEsEvPT2_S3_b ; -- Begin function _Z20warp_exchange_kernelILj2ELj32EN6common25BlockedToStripedShuffleOpEsEvPT2_S3_b
	.globl	_Z20warp_exchange_kernelILj2ELj32EN6common25BlockedToStripedShuffleOpEsEvPT2_S3_b
	.p2align	8
	.type	_Z20warp_exchange_kernelILj2ELj32EN6common25BlockedToStripedShuffleOpEsEvPT2_S3_b,@function
_Z20warp_exchange_kernelILj2ELj32EN6common25BlockedToStripedShuffleOpEsEvPT2_S3_b: ; @_Z20warp_exchange_kernelILj2ELj32EN6common25BlockedToStripedShuffleOpEsEvPT2_S3_b
; %bb.0:
	s_load_dwordx4 s[4:7], s[0:1], 0x0
	s_load_dword s3, s[0:1], 0x10
	v_lshlrev_b32_e32 v1, 2, v0
	s_mov_b32 s2, 0xffff
	v_lshlrev_b32_e32 v0, 1, v0
	s_waitcnt lgkmcnt(0)
	global_load_dword v2, v1, s[4:5]
	v_mbcnt_lo_u32_b32 v1, -1, 0
	v_mbcnt_hi_u32_b32 v1, -1, v1
	v_lshrrev_b32_e32 v3, 1, v1
	v_and_b32_e32 v4, 0x60, v1
	v_and_b32_e32 v1, 1, v1
	v_cmp_eq_u32_e64 s[0:1], 0, v1
	v_and_or_b32 v1, v3, 15, v4
	v_lshlrev_b32_e32 v4, 2, v1
	s_bitcmp0_b32 s3, 0
	s_waitcnt vmcnt(0)
	v_lshrrev_b32_e32 v1, 16, v2
	v_and_b32_e32 v3, 0xffff, v2
	v_or_b32_e32 v2, 64, v4
	s_cbranch_scc0 .LBB45_2
; %bb.1:
	ds_bpermute_b32 v6, v4, v3
	ds_bpermute_b32 v7, v4, v1
	;; [unrolled: 1-line block ×3, first 2 shown]
	s_mov_b32 s3, 0x5040100
	ds_bpermute_b32 v5, v2, v1
	s_waitcnt lgkmcnt(2)
	v_bfi_b32 v7, s2, v7, v6
	v_cndmask_b32_e64 v6, v7, v6, s[0:1]
	s_waitcnt lgkmcnt(1)
	v_perm_b32 v6, v8, v6, s3
	v_cndmask_b32_e64 v7, v7, v6, s[0:1]
	s_cbranch_execz .LBB45_3
	s_branch .LBB45_4
.LBB45_2:
                                        ; implicit-def: $vgpr6
                                        ; implicit-def: $vgpr7
                                        ; implicit-def: $vgpr5
.LBB45_3:
	ds_bpermute_b32 v6, v4, v3
	ds_bpermute_b32 v4, v4, v1
	;; [unrolled: 1-line block ×3, first 2 shown]
	s_mov_b32 s2, 0xffff
	s_waitcnt lgkmcnt(3)
	ds_bpermute_b32 v5, v2, v1
	s_waitcnt lgkmcnt(2)
	v_bfi_b32 v1, s2, v4, v6
	v_cndmask_b32_e64 v2, v1, v6, s[0:1]
	s_mov_b32 s2, 0x5040100
	s_waitcnt lgkmcnt(1)
	v_perm_b32 v6, v3, v2, s2
	v_cndmask_b32_e64 v7, v1, v6, s[0:1]
.LBB45_4:
	s_mov_b32 s2, 0x5040100
	s_waitcnt lgkmcnt(0)
	v_perm_b32 v1, v5, v7, s2
	v_lshlrev_b32_e32 v0, 1, v0
	v_cndmask_b32_e64 v1, v1, v6, s[0:1]
	global_store_dword v0, v1, s[6:7]
	s_endpgm
	.section	.rodata,"a",@progbits
	.p2align	6, 0x0
	.amdhsa_kernel _Z20warp_exchange_kernelILj2ELj32EN6common25BlockedToStripedShuffleOpEsEvPT2_S3_b
		.amdhsa_group_segment_fixed_size 0
		.amdhsa_private_segment_fixed_size 0
		.amdhsa_kernarg_size 20
		.amdhsa_user_sgpr_count 2
		.amdhsa_user_sgpr_dispatch_ptr 0
		.amdhsa_user_sgpr_queue_ptr 0
		.amdhsa_user_sgpr_kernarg_segment_ptr 1
		.amdhsa_user_sgpr_dispatch_id 0
		.amdhsa_user_sgpr_kernarg_preload_length 0
		.amdhsa_user_sgpr_kernarg_preload_offset 0
		.amdhsa_user_sgpr_private_segment_size 0
		.amdhsa_uses_dynamic_stack 0
		.amdhsa_enable_private_segment 0
		.amdhsa_system_sgpr_workgroup_id_x 1
		.amdhsa_system_sgpr_workgroup_id_y 0
		.amdhsa_system_sgpr_workgroup_id_z 0
		.amdhsa_system_sgpr_workgroup_info 0
		.amdhsa_system_vgpr_workitem_id 0
		.amdhsa_next_free_vgpr 9
		.amdhsa_next_free_sgpr 8
		.amdhsa_accum_offset 12
		.amdhsa_reserve_vcc 0
		.amdhsa_float_round_mode_32 0
		.amdhsa_float_round_mode_16_64 0
		.amdhsa_float_denorm_mode_32 3
		.amdhsa_float_denorm_mode_16_64 3
		.amdhsa_dx10_clamp 1
		.amdhsa_ieee_mode 1
		.amdhsa_fp16_overflow 0
		.amdhsa_tg_split 0
		.amdhsa_exception_fp_ieee_invalid_op 0
		.amdhsa_exception_fp_denorm_src 0
		.amdhsa_exception_fp_ieee_div_zero 0
		.amdhsa_exception_fp_ieee_overflow 0
		.amdhsa_exception_fp_ieee_underflow 0
		.amdhsa_exception_fp_ieee_inexact 0
		.amdhsa_exception_int_div_zero 0
	.end_amdhsa_kernel
	.section	.text._Z20warp_exchange_kernelILj2ELj32EN6common25BlockedToStripedShuffleOpEsEvPT2_S3_b,"axG",@progbits,_Z20warp_exchange_kernelILj2ELj32EN6common25BlockedToStripedShuffleOpEsEvPT2_S3_b,comdat
.Lfunc_end45:
	.size	_Z20warp_exchange_kernelILj2ELj32EN6common25BlockedToStripedShuffleOpEsEvPT2_S3_b, .Lfunc_end45-_Z20warp_exchange_kernelILj2ELj32EN6common25BlockedToStripedShuffleOpEsEvPT2_S3_b
                                        ; -- End function
	.section	.AMDGPU.csdata,"",@progbits
; Kernel info:
; codeLenInByte = 348
; NumSgprs: 14
; NumVgprs: 9
; NumAgprs: 0
; TotalNumVgprs: 9
; ScratchSize: 0
; MemoryBound: 0
; FloatMode: 240
; IeeeMode: 1
; LDSByteSize: 0 bytes/workgroup (compile time only)
; SGPRBlocks: 1
; VGPRBlocks: 1
; NumSGPRsForWavesPerEU: 14
; NumVGPRsForWavesPerEU: 9
; AccumOffset: 12
; Occupancy: 8
; WaveLimiterHint : 0
; COMPUTE_PGM_RSRC2:SCRATCH_EN: 0
; COMPUTE_PGM_RSRC2:USER_SGPR: 2
; COMPUTE_PGM_RSRC2:TRAP_HANDLER: 0
; COMPUTE_PGM_RSRC2:TGID_X_EN: 1
; COMPUTE_PGM_RSRC2:TGID_Y_EN: 0
; COMPUTE_PGM_RSRC2:TGID_Z_EN: 0
; COMPUTE_PGM_RSRC2:TIDIG_COMP_CNT: 0
; COMPUTE_PGM_RSRC3_GFX90A:ACCUM_OFFSET: 2
; COMPUTE_PGM_RSRC3_GFX90A:TG_SPLIT: 0
	.section	.text._Z20warp_exchange_kernelILj4ELj16EN6common25BlockedToStripedShuffleOpEaEvPT2_S3_b,"axG",@progbits,_Z20warp_exchange_kernelILj4ELj16EN6common25BlockedToStripedShuffleOpEaEvPT2_S3_b,comdat
	.protected	_Z20warp_exchange_kernelILj4ELj16EN6common25BlockedToStripedShuffleOpEaEvPT2_S3_b ; -- Begin function _Z20warp_exchange_kernelILj4ELj16EN6common25BlockedToStripedShuffleOpEaEvPT2_S3_b
	.globl	_Z20warp_exchange_kernelILj4ELj16EN6common25BlockedToStripedShuffleOpEaEvPT2_S3_b
	.p2align	8
	.type	_Z20warp_exchange_kernelILj4ELj16EN6common25BlockedToStripedShuffleOpEaEvPT2_S3_b,@function
_Z20warp_exchange_kernelILj4ELj16EN6common25BlockedToStripedShuffleOpEaEvPT2_S3_b: ; @_Z20warp_exchange_kernelILj4ELj16EN6common25BlockedToStripedShuffleOpEaEvPT2_S3_b
; %bb.0:
	s_load_dwordx4 s[4:7], s[0:1], 0x0
	s_load_dword s2, s[0:1], 0x10
	v_lshlrev_b32_e32 v0, 2, v0
	v_mbcnt_lo_u32_b32 v2, -1, 0
	v_mbcnt_hi_u32_b32 v2, -1, v2
	s_waitcnt lgkmcnt(0)
	global_load_dword v6, v0, s[4:5]
	v_and_b32_e32 v3, 3, v2
	v_add_u32_e32 v8, -1, v2
	v_add_u32_e32 v10, 12, v2
	v_xor_b32_e32 v13, 2, v3
	v_and_b32_e32 v4, 0x70, v2
	v_and_b32_e32 v11, 3, v8
	;; [unrolled: 1-line block ×3, first 2 shown]
	v_lshlrev_b32_e32 v8, 3, v3
	v_add_u32_e32 v3, -1, v13
	v_bfe_u32 v17, v2, 2, 2
	v_or_b32_e32 v10, v10, v4
	v_lshlrev_b32_e32 v12, 3, v11
	v_lshlrev_b32_e32 v11, 3, v13
	v_and_b32_e32 v13, 3, v3
	v_mov_b32_e32 v1, 0
	v_lshlrev_b32_e32 v9, 2, v2
	v_add_u32_e32 v7, 4, v2
	v_lshrrev_b32_e32 v5, 2, v2
	v_lshlrev_b32_e32 v2, 3, v17
	v_lshlrev_b32_e32 v3, 2, v10
	s_bitcmp0_b32 s2, 0
	v_lshlrev_b32_e32 v13, 3, v13
	v_xor_b32_e32 v10, 2, v17
	s_waitcnt vmcnt(0)
	v_lshrrev_b32_e32 v14, 24, v6
	v_bfe_u32 v16, v6, 8, 8
	v_bfe_u32 v15, v6, 16, 8
	s_cbranch_scc0 .LBB46_2
; %bb.1:
	v_mov_b32_dpp v17, v16 quad_perm:[3,0,1,2] row_mask:0xf bank_mask:0xf
	v_mov_b32_dpp v19, v14 quad_perm:[1,2,3,0] row_mask:0xf bank_mask:0xf
	v_lshlrev_b16_e32 v17, 8, v17
	v_mov_b32_dpp v18, v15 quad_perm:[2,3,0,1] row_mask:0xf bank_mask:0xf
	v_lshlrev_b16_e32 v19, 8, v19
	v_or_b32_sdwa v17, v6, v17 dst_sel:DWORD dst_unused:UNUSED_PAD src0_sel:BYTE_0 src1_sel:DWORD
	v_or_b32_sdwa v18, v18, v19 dst_sel:WORD_1 dst_unused:UNUSED_PAD src0_sel:BYTE_0 src1_sel:DWORD
	v_and_or_b32 v22, v7, 15, v4
	v_or_b32_sdwa v17, v17, v18 dst_sel:DWORD dst_unused:UNUSED_PAD src0_sel:WORD_0 src1_sel:DWORD
	v_bfe_u32 v18, v17, v12, 8
	v_bfe_u32 v20, v17, v13, 8
	;; [unrolled: 1-line block ×3, first 2 shown]
	v_mov_b32_dpp v18, v18 quad_perm:[1,2,3,0] row_mask:0xf bank_mask:0xf
	v_mov_b32_dpp v20, v20 quad_perm:[3,0,1,2] row_mask:0xf bank_mask:0xf
	v_and_b32_e32 v18, 0xff, v18
	v_mov_b32_dpp v19, v19 quad_perm:[2,3,0,1] row_mask:0xf bank_mask:0xf
	ds_bpermute_b32 v18, v3, v18
	v_and_b32_e32 v20, 0xff, v20
	v_lshlrev_b32_e32 v22, 2, v22
	v_and_b32_e32 v19, 0xff, v19
	v_xor_b32_e32 v21, 32, v9
	ds_bpermute_b32 v20, v22, v20
	ds_bpermute_b32 v19, v21, v19
	v_lshrrev_b32_e32 v17, v8, v17
	s_waitcnt lgkmcnt(2)
	v_lshlrev_b16_e32 v18, 8, v18
	v_or_b32_sdwa v17, v17, v18 dst_sel:DWORD dst_unused:UNUSED_PAD src0_sel:BYTE_0 src1_sel:DWORD
	s_waitcnt lgkmcnt(1)
	v_lshlrev_b16_e32 v18, 8, v20
	s_waitcnt lgkmcnt(0)
	v_or_b32_sdwa v18, v19, v18 dst_sel:WORD_1 dst_unused:UNUSED_PAD src0_sel:BYTE_0 src1_sel:DWORD
	v_lshlrev_b32_e32 v19, 3, v10
	v_or_b32_sdwa v20, v17, v18 dst_sel:DWORD dst_unused:UNUSED_PAD src0_sel:WORD_0 src1_sel:DWORD
	v_add_u32_e32 v17, -1, v5
	v_and_b32_e32 v17, 3, v17
	v_add_u32_e32 v18, -1, v10
	v_lshlrev_b32_e32 v17, 3, v17
	v_and_b32_e32 v18, 3, v18
	v_lshlrev_b32_e32 v23, 3, v18
	v_bfe_u32 v17, v20, v17, 8
	ds_bpermute_b32 v18, v22, v17
	v_bfe_u32 v17, v20, v19, 8
	v_bfe_u32 v19, v20, v23, 8
	ds_bpermute_b32 v17, v21, v17
	ds_bpermute_b32 v19, v3, v19
	v_lshrrev_b32_e32 v20, v2, v20
	s_cbranch_execz .LBB46_3
	s_branch .LBB46_4
.LBB46_2:
                                        ; implicit-def: $vgpr17
                                        ; implicit-def: $vgpr18
                                        ; implicit-def: $vgpr20
                                        ; implicit-def: $vgpr19
.LBB46_3:
	v_mov_b32_dpp v16, v16 quad_perm:[3,0,1,2] row_mask:0xf bank_mask:0xf
	v_mov_b32_dpp v14, v14 quad_perm:[1,2,3,0] row_mask:0xf bank_mask:0xf
	v_lshlrev_b16_e32 v16, 8, v16
	v_mov_b32_dpp v15, v15 quad_perm:[2,3,0,1] row_mask:0xf bank_mask:0xf
	v_lshlrev_b16_e32 v14, 8, v14
	v_or_b32_sdwa v6, v6, v16 dst_sel:DWORD dst_unused:UNUSED_PAD src0_sel:BYTE_0 src1_sel:DWORD
	v_or_b32_sdwa v14, v15, v14 dst_sel:WORD_1 dst_unused:UNUSED_PAD src0_sel:BYTE_0 src1_sel:DWORD
	v_and_or_b32 v4, v7, 15, v4
	v_or_b32_sdwa v6, v6, v14 dst_sel:DWORD dst_unused:UNUSED_PAD src0_sel:WORD_0 src1_sel:DWORD
	v_bfe_u32 v12, v6, v12, 8
	v_bfe_u32 v13, v6, v13, 8
	;; [unrolled: 1-line block ×3, first 2 shown]
	v_mov_b32_dpp v12, v12 quad_perm:[1,2,3,0] row_mask:0xf bank_mask:0xf
	v_mov_b32_dpp v13, v13 quad_perm:[3,0,1,2] row_mask:0xf bank_mask:0xf
	;; [unrolled: 1-line block ×3, first 2 shown]
	v_and_b32_e32 v12, 0xff, v12
	v_and_b32_e32 v13, 0xff, v13
	v_lshlrev_b32_e32 v4, 2, v4
	ds_bpermute_b32 v12, v3, v12
	v_and_b32_e32 v11, 0xff, v11
	v_xor_b32_e32 v9, 32, v9
	ds_bpermute_b32 v7, v4, v13
	ds_bpermute_b32 v11, v9, v11
	v_lshrrev_b32_e32 v6, v8, v6
	s_waitcnt lgkmcnt(2)
	v_lshlrev_b16_e32 v8, 8, v12
	v_add_u32_e32 v5, -1, v5
	s_waitcnt lgkmcnt(1)
	v_lshlrev_b16_e32 v7, 8, v7
	v_or_b32_sdwa v6, v6, v8 dst_sel:DWORD dst_unused:UNUSED_PAD src0_sel:BYTE_0 src1_sel:DWORD
	s_waitcnt lgkmcnt(0)
	v_or_b32_sdwa v7, v11, v7 dst_sel:WORD_1 dst_unused:UNUSED_PAD src0_sel:BYTE_0 src1_sel:DWORD
	v_and_b32_e32 v5, 3, v5
	v_or_b32_sdwa v6, v6, v7 dst_sel:DWORD dst_unused:UNUSED_PAD src0_sel:WORD_0 src1_sel:DWORD
	v_lshlrev_b32_e32 v5, 3, v5
	v_add_u32_e32 v8, -1, v10
	v_lshlrev_b32_e32 v7, 3, v10
	v_and_b32_e32 v8, 3, v8
	v_bfe_u32 v5, v6, v5, 8
	v_lshlrev_b32_e32 v8, 3, v8
	ds_bpermute_b32 v18, v4, v5
	v_bfe_u32 v4, v6, v7, 8
	ds_bpermute_b32 v17, v9, v4
	v_bfe_u32 v4, v6, v8, 8
	ds_bpermute_b32 v19, v3, v4
	v_lshrrev_b32_e32 v20, v2, v6
.LBB46_4:
	s_waitcnt lgkmcnt(2)
	v_lshlrev_b16_e32 v2, 8, v18
	s_waitcnt lgkmcnt(0)
	v_lshlrev_b16_e32 v3, 8, v19
	v_or_b32_sdwa v2, v20, v2 dst_sel:DWORD dst_unused:UNUSED_PAD src0_sel:BYTE_0 src1_sel:DWORD
	v_or_b32_sdwa v3, v17, v3 dst_sel:WORD_1 dst_unused:UNUSED_PAD src0_sel:BYTE_0 src1_sel:DWORD
	v_lshl_add_u64 v[0:1], s[6:7], 0, v[0:1]
	v_or_b32_sdwa v2, v2, v3 dst_sel:DWORD dst_unused:UNUSED_PAD src0_sel:WORD_0 src1_sel:DWORD
	global_store_dword v[0:1], v2, off
	s_endpgm
	.section	.rodata,"a",@progbits
	.p2align	6, 0x0
	.amdhsa_kernel _Z20warp_exchange_kernelILj4ELj16EN6common25BlockedToStripedShuffleOpEaEvPT2_S3_b
		.amdhsa_group_segment_fixed_size 0
		.amdhsa_private_segment_fixed_size 0
		.amdhsa_kernarg_size 20
		.amdhsa_user_sgpr_count 2
		.amdhsa_user_sgpr_dispatch_ptr 0
		.amdhsa_user_sgpr_queue_ptr 0
		.amdhsa_user_sgpr_kernarg_segment_ptr 1
		.amdhsa_user_sgpr_dispatch_id 0
		.amdhsa_user_sgpr_kernarg_preload_length 0
		.amdhsa_user_sgpr_kernarg_preload_offset 0
		.amdhsa_user_sgpr_private_segment_size 0
		.amdhsa_uses_dynamic_stack 0
		.amdhsa_enable_private_segment 0
		.amdhsa_system_sgpr_workgroup_id_x 1
		.amdhsa_system_sgpr_workgroup_id_y 0
		.amdhsa_system_sgpr_workgroup_id_z 0
		.amdhsa_system_sgpr_workgroup_info 0
		.amdhsa_system_vgpr_workitem_id 0
		.amdhsa_next_free_vgpr 24
		.amdhsa_next_free_sgpr 8
		.amdhsa_accum_offset 24
		.amdhsa_reserve_vcc 0
		.amdhsa_float_round_mode_32 0
		.amdhsa_float_round_mode_16_64 0
		.amdhsa_float_denorm_mode_32 3
		.amdhsa_float_denorm_mode_16_64 3
		.amdhsa_dx10_clamp 1
		.amdhsa_ieee_mode 1
		.amdhsa_fp16_overflow 0
		.amdhsa_tg_split 0
		.amdhsa_exception_fp_ieee_invalid_op 0
		.amdhsa_exception_fp_denorm_src 0
		.amdhsa_exception_fp_ieee_div_zero 0
		.amdhsa_exception_fp_ieee_overflow 0
		.amdhsa_exception_fp_ieee_underflow 0
		.amdhsa_exception_fp_ieee_inexact 0
		.amdhsa_exception_int_div_zero 0
	.end_amdhsa_kernel
	.section	.text._Z20warp_exchange_kernelILj4ELj16EN6common25BlockedToStripedShuffleOpEaEvPT2_S3_b,"axG",@progbits,_Z20warp_exchange_kernelILj4ELj16EN6common25BlockedToStripedShuffleOpEaEvPT2_S3_b,comdat
.Lfunc_end46:
	.size	_Z20warp_exchange_kernelILj4ELj16EN6common25BlockedToStripedShuffleOpEaEvPT2_S3_b, .Lfunc_end46-_Z20warp_exchange_kernelILj4ELj16EN6common25BlockedToStripedShuffleOpEaEvPT2_S3_b
                                        ; -- End function
	.section	.AMDGPU.csdata,"",@progbits
; Kernel info:
; codeLenInByte = 836
; NumSgprs: 14
; NumVgprs: 24
; NumAgprs: 0
; TotalNumVgprs: 24
; ScratchSize: 0
; MemoryBound: 0
; FloatMode: 240
; IeeeMode: 1
; LDSByteSize: 0 bytes/workgroup (compile time only)
; SGPRBlocks: 1
; VGPRBlocks: 2
; NumSGPRsForWavesPerEU: 14
; NumVGPRsForWavesPerEU: 24
; AccumOffset: 24
; Occupancy: 8
; WaveLimiterHint : 0
; COMPUTE_PGM_RSRC2:SCRATCH_EN: 0
; COMPUTE_PGM_RSRC2:USER_SGPR: 2
; COMPUTE_PGM_RSRC2:TRAP_HANDLER: 0
; COMPUTE_PGM_RSRC2:TGID_X_EN: 1
; COMPUTE_PGM_RSRC2:TGID_Y_EN: 0
; COMPUTE_PGM_RSRC2:TGID_Z_EN: 0
; COMPUTE_PGM_RSRC2:TIDIG_COMP_CNT: 0
; COMPUTE_PGM_RSRC3_GFX90A:ACCUM_OFFSET: 5
; COMPUTE_PGM_RSRC3_GFX90A:TG_SPLIT: 0
	.section	.text._Z20warp_exchange_kernelILj4ELj8EN6common25BlockedToStripedShuffleOpEiEvPT2_S3_b,"axG",@progbits,_Z20warp_exchange_kernelILj4ELj8EN6common25BlockedToStripedShuffleOpEiEvPT2_S3_b,comdat
	.protected	_Z20warp_exchange_kernelILj4ELj8EN6common25BlockedToStripedShuffleOpEiEvPT2_S3_b ; -- Begin function _Z20warp_exchange_kernelILj4ELj8EN6common25BlockedToStripedShuffleOpEiEvPT2_S3_b
	.globl	_Z20warp_exchange_kernelILj4ELj8EN6common25BlockedToStripedShuffleOpEiEvPT2_S3_b
	.p2align	8
	.type	_Z20warp_exchange_kernelILj4ELj8EN6common25BlockedToStripedShuffleOpEiEvPT2_S3_b,@function
_Z20warp_exchange_kernelILj4ELj8EN6common25BlockedToStripedShuffleOpEiEvPT2_S3_b: ; @_Z20warp_exchange_kernelILj4ELj8EN6common25BlockedToStripedShuffleOpEiEvPT2_S3_b
; %bb.0:
	s_load_dwordx4 s[40:43], s[0:1], 0x0
	s_load_dword s2, s[0:1], 0x10
	v_lshlrev_b32_e32 v1, 4, v0
	v_mov_b32_e32 v7, 0
	v_lshlrev_b32_e32 v0, 2, v0
	s_waitcnt lgkmcnt(0)
	global_load_dwordx4 v[2:5], v1, s[40:41]
	v_mbcnt_lo_u32_b32 v1, -1, 0
	v_mbcnt_hi_u32_b32 v6, -1, v1
	v_and_b32_e32 v8, 3, v6
	v_add_u32_e32 v1, -1, v6
	v_xor_b32_e32 v10, 2, v8
	v_and_b32_e32 v9, 3, v1
	v_add_u32_e32 v1, -1, v10
	v_and_b32_e32 v11, 3, v1
	v_lshlrev_b32_e32 v1, 2, v6
	v_bfe_u32 v6, v6, 2, 1
	v_or_b32_e32 v12, 2, v6
	s_bitcmp0_b32 s2, 0
	v_xor_b32_e32 v1, 16, v1
	v_cmp_eq_u32_e64 s[20:21], 1, v9
	v_cmp_eq_u32_e64 s[22:23], 2, v9
	;; [unrolled: 1-line block ×12, first 2 shown]
	v_cmp_ne_u64_e64 s[14:15], 0, v[6:7]
	v_cmp_eq_u32_e64 s[16:17], 2, v6
	v_cmp_eq_u32_e64 s[0:1], 3, v6
	;; [unrolled: 1-line block ×5, first 2 shown]
	v_xor_b32_e32 v11, 1, v6
	v_cmp_eq_u64_e64 s[18:19], 0, v[6:7]
	v_xor_b32_e32 v10, 3, v6
	s_cbranch_scc0 .LBB47_2
; %bb.1:
	s_waitcnt vmcnt(0)
	v_mov_b32_dpp v6, v3 quad_perm:[3,0,1,2] row_mask:0xf bank_mask:0xf
	v_mov_b32_dpp v7, v4 quad_perm:[2,3,0,1] row_mask:0xf bank_mask:0xf
	v_cndmask_b32_e64 v9, v2, v6, s[20:21]
	v_mov_b32_dpp v8, v5 quad_perm:[1,2,3,0] row_mask:0xf bank_mask:0xf
	v_cndmask_b32_e64 v9, v9, v7, s[22:23]
	v_cndmask_b32_e64 v9, v9, v8, s[24:25]
	;; [unrolled: 1-line block ×4, first 2 shown]
	v_mov_b32_dpp v9, v9 quad_perm:[1,2,3,0] row_mask:0xf bank_mask:0xf
	v_cndmask_b32_e64 v13, v13, v8, s[38:39]
	ds_bpermute_b32 v14, v1, v9
	v_cndmask_b32_e64 v12, v2, v6, s[26:27]
	v_mov_b32_dpp v13, v13 quad_perm:[3,0,1,2] row_mask:0xf bank_mask:0xf
	ds_bpermute_b32 v13, v1, v13
	v_cndmask_b32_e64 v6, v2, v6, s[8:9]
	v_cndmask_b32_e64 v12, v12, v7, s[28:29]
	;; [unrolled: 1-line block ×5, first 2 shown]
	s_waitcnt lgkmcnt(1)
	v_cndmask_b32_e64 v8, v7, v14, s[18:19]
	v_mov_b32_dpp v12, v12 quad_perm:[2,3,0,1] row_mask:0xf bank_mask:0xf
	v_cmp_eq_u32_e32 vcc, 2, v11
	v_cndmask_b32_e64 v6, v7, v14, s[14:15]
	v_cndmask_b32_e64 v6, v6, v12, s[16:17]
	v_cndmask_b32_e32 v8, v8, v12, vcc
	v_cmp_eq_u32_e32 vcc, 3, v11
	s_waitcnt lgkmcnt(0)
	v_cndmask_b32_e64 v6, v6, v13, s[0:1]
	v_cndmask_b32_e32 v8, v8, v13, vcc
	v_cmp_eq_u32_e32 vcc, 1, v10
	ds_bpermute_b32 v8, v1, v8
	s_nop 0
	v_cndmask_b32_e32 v9, v7, v14, vcc
	v_cmp_eq_u32_e32 vcc, 2, v10
	v_cndmask_b32_e64 v7, v7, v14, s[2:3]
	v_cndmask_b32_e64 v7, v7, v12, s[4:5]
	v_cndmask_b32_e32 v9, v9, v12, vcc
	v_cmp_eq_u32_e32 vcc, 3, v10
	v_cndmask_b32_e64 v7, v7, v13, s[6:7]
	s_nop 0
	v_cndmask_b32_e32 v9, v9, v13, vcc
	ds_bpermute_b32 v9, v1, v9
	s_cbranch_execz .LBB47_3
	s_branch .LBB47_4
.LBB47_2:
                                        ; implicit-def: $vgpr8_vgpr9
.LBB47_3:
	s_waitcnt vmcnt(0)
	v_mov_b32_dpp v3, v3 quad_perm:[3,0,1,2] row_mask:0xf bank_mask:0xf
	v_mov_b32_dpp v4, v4 quad_perm:[2,3,0,1] row_mask:0xf bank_mask:0xf
	v_cndmask_b32_e64 v6, v2, v3, s[20:21]
	v_mov_b32_dpp v5, v5 quad_perm:[1,2,3,0] row_mask:0xf bank_mask:0xf
	v_cndmask_b32_e64 v6, v6, v4, s[22:23]
	v_cndmask_b32_e64 v6, v6, v5, s[24:25]
	s_waitcnt lgkmcnt(1)
	v_cndmask_b32_e64 v8, v2, v3, s[34:35]
	v_cndmask_b32_e64 v8, v8, v4, s[36:37]
	v_mov_b32_dpp v6, v6 quad_perm:[1,2,3,0] row_mask:0xf bank_mask:0xf
	v_cndmask_b32_e64 v8, v8, v5, s[38:39]
	ds_bpermute_b32 v12, v1, v6
	v_cndmask_b32_e64 v7, v2, v3, s[26:27]
	v_mov_b32_dpp v8, v8 quad_perm:[3,0,1,2] row_mask:0xf bank_mask:0xf
	ds_bpermute_b32 v13, v1, v8
	v_cndmask_b32_e64 v2, v2, v3, s[8:9]
	v_cndmask_b32_e64 v7, v7, v4, s[28:29]
	;; [unrolled: 1-line block ×5, first 2 shown]
	s_waitcnt lgkmcnt(1)
	v_cndmask_b32_e64 v4, v2, v12, s[18:19]
	v_mov_b32_dpp v7, v7 quad_perm:[2,3,0,1] row_mask:0xf bank_mask:0xf
	v_cmp_eq_u32_e32 vcc, 2, v11
	v_cndmask_b32_e64 v3, v2, v12, s[14:15]
	v_cndmask_b32_e64 v3, v3, v7, s[16:17]
	v_cndmask_b32_e32 v4, v4, v7, vcc
	v_cmp_eq_u32_e32 vcc, 3, v11
	s_waitcnt lgkmcnt(0)
	v_cndmask_b32_e64 v6, v3, v13, s[0:1]
	v_cndmask_b32_e32 v4, v4, v13, vcc
	v_cmp_eq_u32_e32 vcc, 1, v10
	ds_bpermute_b32 v8, v1, v4
	s_nop 0
	v_cndmask_b32_e32 v5, v2, v12, vcc
	v_cmp_eq_u32_e32 vcc, 2, v10
	s_nop 1
	v_cndmask_b32_e32 v5, v5, v7, vcc
	v_cmp_eq_u32_e32 vcc, 3, v10
	s_nop 1
	v_cndmask_b32_e32 v5, v5, v13, vcc
	ds_bpermute_b32 v9, v1, v5
	v_cndmask_b32_e64 v1, v2, v12, s[2:3]
	v_cndmask_b32_e64 v1, v1, v7, s[4:5]
	;; [unrolled: 1-line block ×3, first 2 shown]
.LBB47_4:
	v_lshlrev_b32_e32 v0, 2, v0
	s_waitcnt lgkmcnt(0)
	global_store_dwordx4 v0, v[6:9], s[42:43]
	s_endpgm
	.section	.rodata,"a",@progbits
	.p2align	6, 0x0
	.amdhsa_kernel _Z20warp_exchange_kernelILj4ELj8EN6common25BlockedToStripedShuffleOpEiEvPT2_S3_b
		.amdhsa_group_segment_fixed_size 0
		.amdhsa_private_segment_fixed_size 0
		.amdhsa_kernarg_size 20
		.amdhsa_user_sgpr_count 2
		.amdhsa_user_sgpr_dispatch_ptr 0
		.amdhsa_user_sgpr_queue_ptr 0
		.amdhsa_user_sgpr_kernarg_segment_ptr 1
		.amdhsa_user_sgpr_dispatch_id 0
		.amdhsa_user_sgpr_kernarg_preload_length 0
		.amdhsa_user_sgpr_kernarg_preload_offset 0
		.amdhsa_user_sgpr_private_segment_size 0
		.amdhsa_uses_dynamic_stack 0
		.amdhsa_enable_private_segment 0
		.amdhsa_system_sgpr_workgroup_id_x 1
		.amdhsa_system_sgpr_workgroup_id_y 0
		.amdhsa_system_sgpr_workgroup_id_z 0
		.amdhsa_system_sgpr_workgroup_info 0
		.amdhsa_system_vgpr_workitem_id 0
		.amdhsa_next_free_vgpr 15
		.amdhsa_next_free_sgpr 44
		.amdhsa_accum_offset 16
		.amdhsa_reserve_vcc 1
		.amdhsa_float_round_mode_32 0
		.amdhsa_float_round_mode_16_64 0
		.amdhsa_float_denorm_mode_32 3
		.amdhsa_float_denorm_mode_16_64 3
		.amdhsa_dx10_clamp 1
		.amdhsa_ieee_mode 1
		.amdhsa_fp16_overflow 0
		.amdhsa_tg_split 0
		.amdhsa_exception_fp_ieee_invalid_op 0
		.amdhsa_exception_fp_denorm_src 0
		.amdhsa_exception_fp_ieee_div_zero 0
		.amdhsa_exception_fp_ieee_overflow 0
		.amdhsa_exception_fp_ieee_underflow 0
		.amdhsa_exception_fp_ieee_inexact 0
		.amdhsa_exception_int_div_zero 0
	.end_amdhsa_kernel
	.section	.text._Z20warp_exchange_kernelILj4ELj8EN6common25BlockedToStripedShuffleOpEiEvPT2_S3_b,"axG",@progbits,_Z20warp_exchange_kernelILj4ELj8EN6common25BlockedToStripedShuffleOpEiEvPT2_S3_b,comdat
.Lfunc_end47:
	.size	_Z20warp_exchange_kernelILj4ELj8EN6common25BlockedToStripedShuffleOpEiEvPT2_S3_b, .Lfunc_end47-_Z20warp_exchange_kernelILj4ELj8EN6common25BlockedToStripedShuffleOpEiEvPT2_S3_b
                                        ; -- End function
	.section	.AMDGPU.csdata,"",@progbits
; Kernel info:
; codeLenInByte = 888
; NumSgprs: 50
; NumVgprs: 15
; NumAgprs: 0
; TotalNumVgprs: 15
; ScratchSize: 0
; MemoryBound: 0
; FloatMode: 240
; IeeeMode: 1
; LDSByteSize: 0 bytes/workgroup (compile time only)
; SGPRBlocks: 6
; VGPRBlocks: 1
; NumSGPRsForWavesPerEU: 50
; NumVGPRsForWavesPerEU: 15
; AccumOffset: 16
; Occupancy: 8
; WaveLimiterHint : 0
; COMPUTE_PGM_RSRC2:SCRATCH_EN: 0
; COMPUTE_PGM_RSRC2:USER_SGPR: 2
; COMPUTE_PGM_RSRC2:TRAP_HANDLER: 0
; COMPUTE_PGM_RSRC2:TGID_X_EN: 1
; COMPUTE_PGM_RSRC2:TGID_Y_EN: 0
; COMPUTE_PGM_RSRC2:TGID_Z_EN: 0
; COMPUTE_PGM_RSRC2:TIDIG_COMP_CNT: 0
; COMPUTE_PGM_RSRC3_GFX90A:ACCUM_OFFSET: 3
; COMPUTE_PGM_RSRC3_GFX90A:TG_SPLIT: 0
	.section	.text._Z20warp_exchange_kernelILj4ELj8EN6common18BlockedToStripedOpE12hip_bfloat16EvPT2_S4_b,"axG",@progbits,_Z20warp_exchange_kernelILj4ELj8EN6common18BlockedToStripedOpE12hip_bfloat16EvPT2_S4_b,comdat
	.protected	_Z20warp_exchange_kernelILj4ELj8EN6common18BlockedToStripedOpE12hip_bfloat16EvPT2_S4_b ; -- Begin function _Z20warp_exchange_kernelILj4ELj8EN6common18BlockedToStripedOpE12hip_bfloat16EvPT2_S4_b
	.globl	_Z20warp_exchange_kernelILj4ELj8EN6common18BlockedToStripedOpE12hip_bfloat16EvPT2_S4_b
	.p2align	8
	.type	_Z20warp_exchange_kernelILj4ELj8EN6common18BlockedToStripedOpE12hip_bfloat16EvPT2_S4_b,@function
_Z20warp_exchange_kernelILj4ELj8EN6common18BlockedToStripedOpE12hip_bfloat16EvPT2_S4_b: ; @_Z20warp_exchange_kernelILj4ELj8EN6common18BlockedToStripedOpE12hip_bfloat16EvPT2_S4_b
; %bb.0:
	s_load_dwordx4 s[4:7], s[0:1], 0x0
	s_load_dword s2, s[0:1], 0x10
	v_lshlrev_b32_e32 v1, 3, v0
	v_lshrrev_b32_e32 v5, 3, v0
	s_waitcnt lgkmcnt(0)
	global_load_dwordx2 v[2:3], v1, s[4:5]
	v_lshlrev_b32_e32 v1, 2, v0
	v_mbcnt_lo_u32_b32 v0, -1, 0
	v_mbcnt_hi_u32_b32 v0, -1, v0
	v_and_b32_e32 v0, 7, v0
	s_bitcmp0_b32 s2, 0
	v_lshlrev_b32_e32 v6, 2, v0
	s_cbranch_scc0 .LBB48_2
; %bb.1:
	v_mov_b32_e32 v4, 0x200
	v_lshl_add_u32 v4, v5, 6, v4
	v_lshl_or_b32 v7, v6, 1, v4
	s_waitcnt vmcnt(0)
	ds_write_b64 v7, v[2:3]
	; wave barrier
	s_cbranch_execz .LBB48_3
	s_branch .LBB48_4
.LBB48_2:
                                        ; implicit-def: $vgpr4
.LBB48_3:
	v_lshlrev_b32_e32 v4, 6, v5
	v_lshl_or_b32 v5, v6, 1, v4
	s_waitcnt vmcnt(0)
	ds_write_b64 v5, v[2:3]
	; wave barrier
.LBB48_4:
	v_lshl_add_u32 v0, v0, 1, v4
	s_waitcnt vmcnt(0)
	ds_read_u16 v2, v0 offset:32
	ds_read_u16 v3, v0 offset:48
	ds_read_u16 v4, v0
	ds_read_u16 v0, v0 offset:16
	s_mov_b32 s0, 0x5040100
	v_lshlrev_b32_e32 v5, 1, v1
	s_waitcnt lgkmcnt(2)
	v_perm_b32 v1, v3, v2, s0
	s_waitcnt lgkmcnt(0)
	v_perm_b32 v0, v0, v4, s0
	global_store_dwordx2 v5, v[0:1], s[6:7]
	s_endpgm
	.section	.rodata,"a",@progbits
	.p2align	6, 0x0
	.amdhsa_kernel _Z20warp_exchange_kernelILj4ELj8EN6common18BlockedToStripedOpE12hip_bfloat16EvPT2_S4_b
		.amdhsa_group_segment_fixed_size 1024
		.amdhsa_private_segment_fixed_size 0
		.amdhsa_kernarg_size 20
		.amdhsa_user_sgpr_count 2
		.amdhsa_user_sgpr_dispatch_ptr 0
		.amdhsa_user_sgpr_queue_ptr 0
		.amdhsa_user_sgpr_kernarg_segment_ptr 1
		.amdhsa_user_sgpr_dispatch_id 0
		.amdhsa_user_sgpr_kernarg_preload_length 0
		.amdhsa_user_sgpr_kernarg_preload_offset 0
		.amdhsa_user_sgpr_private_segment_size 0
		.amdhsa_uses_dynamic_stack 0
		.amdhsa_enable_private_segment 0
		.amdhsa_system_sgpr_workgroup_id_x 1
		.amdhsa_system_sgpr_workgroup_id_y 0
		.amdhsa_system_sgpr_workgroup_id_z 0
		.amdhsa_system_sgpr_workgroup_info 0
		.amdhsa_system_vgpr_workitem_id 0
		.amdhsa_next_free_vgpr 8
		.amdhsa_next_free_sgpr 8
		.amdhsa_accum_offset 8
		.amdhsa_reserve_vcc 0
		.amdhsa_float_round_mode_32 0
		.amdhsa_float_round_mode_16_64 0
		.amdhsa_float_denorm_mode_32 3
		.amdhsa_float_denorm_mode_16_64 3
		.amdhsa_dx10_clamp 1
		.amdhsa_ieee_mode 1
		.amdhsa_fp16_overflow 0
		.amdhsa_tg_split 0
		.amdhsa_exception_fp_ieee_invalid_op 0
		.amdhsa_exception_fp_denorm_src 0
		.amdhsa_exception_fp_ieee_div_zero 0
		.amdhsa_exception_fp_ieee_overflow 0
		.amdhsa_exception_fp_ieee_underflow 0
		.amdhsa_exception_fp_ieee_inexact 0
		.amdhsa_exception_int_div_zero 0
	.end_amdhsa_kernel
	.section	.text._Z20warp_exchange_kernelILj4ELj8EN6common18BlockedToStripedOpE12hip_bfloat16EvPT2_S4_b,"axG",@progbits,_Z20warp_exchange_kernelILj4ELj8EN6common18BlockedToStripedOpE12hip_bfloat16EvPT2_S4_b,comdat
.Lfunc_end48:
	.size	_Z20warp_exchange_kernelILj4ELj8EN6common18BlockedToStripedOpE12hip_bfloat16EvPT2_S4_b, .Lfunc_end48-_Z20warp_exchange_kernelILj4ELj8EN6common18BlockedToStripedOpE12hip_bfloat16EvPT2_S4_b
                                        ; -- End function
	.section	.AMDGPU.csdata,"",@progbits
; Kernel info:
; codeLenInByte = 232
; NumSgprs: 14
; NumVgprs: 8
; NumAgprs: 0
; TotalNumVgprs: 8
; ScratchSize: 0
; MemoryBound: 0
; FloatMode: 240
; IeeeMode: 1
; LDSByteSize: 1024 bytes/workgroup (compile time only)
; SGPRBlocks: 1
; VGPRBlocks: 0
; NumSGPRsForWavesPerEU: 14
; NumVGPRsForWavesPerEU: 8
; AccumOffset: 8
; Occupancy: 8
; WaveLimiterHint : 0
; COMPUTE_PGM_RSRC2:SCRATCH_EN: 0
; COMPUTE_PGM_RSRC2:USER_SGPR: 2
; COMPUTE_PGM_RSRC2:TRAP_HANDLER: 0
; COMPUTE_PGM_RSRC2:TGID_X_EN: 1
; COMPUTE_PGM_RSRC2:TGID_Y_EN: 0
; COMPUTE_PGM_RSRC2:TGID_Z_EN: 0
; COMPUTE_PGM_RSRC2:TIDIG_COMP_CNT: 0
; COMPUTE_PGM_RSRC3_GFX90A:ACCUM_OFFSET: 1
; COMPUTE_PGM_RSRC3_GFX90A:TG_SPLIT: 0
	.section	.text._Z20warp_exchange_kernelILj5ELj32EN6common18BlockedToStripedOpEdEvPT2_S3_b,"axG",@progbits,_Z20warp_exchange_kernelILj5ELj32EN6common18BlockedToStripedOpEdEvPT2_S3_b,comdat
	.protected	_Z20warp_exchange_kernelILj5ELj32EN6common18BlockedToStripedOpEdEvPT2_S3_b ; -- Begin function _Z20warp_exchange_kernelILj5ELj32EN6common18BlockedToStripedOpEdEvPT2_S3_b
	.globl	_Z20warp_exchange_kernelILj5ELj32EN6common18BlockedToStripedOpEdEvPT2_S3_b
	.p2align	8
	.type	_Z20warp_exchange_kernelILj5ELj32EN6common18BlockedToStripedOpEdEvPT2_S3_b,@function
_Z20warp_exchange_kernelILj5ELj32EN6common18BlockedToStripedOpEdEvPT2_S3_b: ; @_Z20warp_exchange_kernelILj5ELj32EN6common18BlockedToStripedOpEdEvPT2_S3_b
; %bb.0:
	s_load_dwordx4 s[4:7], s[0:1], 0x0
	s_load_dword s2, s[0:1], 0x10
	v_mul_u32_u24_e32 v1, 5, v0
	v_lshlrev_b32_e32 v1, 3, v1
	v_lshrrev_b32_e32 v13, 5, v0
	s_waitcnt lgkmcnt(0)
	global_load_dwordx2 v[10:11], v1, s[4:5] offset:32
	global_load_dwordx4 v[2:5], v1, s[4:5] offset:16
	global_load_dwordx4 v[6:9], v1, s[4:5]
	v_mbcnt_lo_u32_b32 v0, -1, 0
	v_mbcnt_hi_u32_b32 v0, -1, v0
	v_and_b32_e32 v0, 31, v0
	s_bitcmp0_b32 s2, 0
	v_mul_u32_u24_e32 v14, 40, v0
	s_cbranch_scc0 .LBB49_2
; %bb.1:
	s_movk_i32 s0, 0x500
	v_mov_b32_e32 v12, 0xa00
	v_mad_u32_u24 v12, v13, s0, v12
	v_add_u32_e32 v15, v12, v14
	s_waitcnt vmcnt(0)
	ds_write2_b64 v15, v[6:7], v[8:9] offset1:1
	ds_write2_b64 v15, v[2:3], v[4:5] offset0:2 offset1:3
	ds_write_b64 v15, v[10:11] offset:32
	; wave barrier
	s_cbranch_execz .LBB49_3
	s_branch .LBB49_4
.LBB49_2:
                                        ; implicit-def: $vgpr12
.LBB49_3:
	s_movk_i32 s0, 0x500
	v_mul_u32_u24_e32 v12, 0x500, v13
	v_mad_u32_u24 v13, v13, s0, v14
	s_waitcnt vmcnt(0)
	ds_write2_b64 v13, v[6:7], v[8:9] offset1:1
	ds_write2_b64 v13, v[2:3], v[4:5] offset0:2 offset1:3
	ds_write_b64 v13, v[10:11] offset:32
	; wave barrier
.LBB49_4:
	v_lshl_add_u32 v0, v0, 3, v12
	s_waitcnt vmcnt(1)
	ds_read2_b64 v[2:5], v0 offset1:32
	s_waitcnt vmcnt(0)
	ds_read2_b64 v[6:9], v0 offset0:64 offset1:96
	ds_read_b64 v[10:11], v0 offset:1024
	s_waitcnt lgkmcnt(2)
	global_store_dwordx4 v1, v[2:5], s[6:7]
	s_waitcnt lgkmcnt(1)
	global_store_dwordx4 v1, v[6:9], s[6:7] offset:16
	s_waitcnt lgkmcnt(0)
	global_store_dwordx2 v1, v[10:11], s[6:7] offset:32
	s_endpgm
	.section	.rodata,"a",@progbits
	.p2align	6, 0x0
	.amdhsa_kernel _Z20warp_exchange_kernelILj5ELj32EN6common18BlockedToStripedOpEdEvPT2_S3_b
		.amdhsa_group_segment_fixed_size 5120
		.amdhsa_private_segment_fixed_size 0
		.amdhsa_kernarg_size 20
		.amdhsa_user_sgpr_count 2
		.amdhsa_user_sgpr_dispatch_ptr 0
		.amdhsa_user_sgpr_queue_ptr 0
		.amdhsa_user_sgpr_kernarg_segment_ptr 1
		.amdhsa_user_sgpr_dispatch_id 0
		.amdhsa_user_sgpr_kernarg_preload_length 0
		.amdhsa_user_sgpr_kernarg_preload_offset 0
		.amdhsa_user_sgpr_private_segment_size 0
		.amdhsa_uses_dynamic_stack 0
		.amdhsa_enable_private_segment 0
		.amdhsa_system_sgpr_workgroup_id_x 1
		.amdhsa_system_sgpr_workgroup_id_y 0
		.amdhsa_system_sgpr_workgroup_id_z 0
		.amdhsa_system_sgpr_workgroup_info 0
		.amdhsa_system_vgpr_workitem_id 0
		.amdhsa_next_free_vgpr 16
		.amdhsa_next_free_sgpr 8
		.amdhsa_accum_offset 16
		.amdhsa_reserve_vcc 0
		.amdhsa_float_round_mode_32 0
		.amdhsa_float_round_mode_16_64 0
		.amdhsa_float_denorm_mode_32 3
		.amdhsa_float_denorm_mode_16_64 3
		.amdhsa_dx10_clamp 1
		.amdhsa_ieee_mode 1
		.amdhsa_fp16_overflow 0
		.amdhsa_tg_split 0
		.amdhsa_exception_fp_ieee_invalid_op 0
		.amdhsa_exception_fp_denorm_src 0
		.amdhsa_exception_fp_ieee_div_zero 0
		.amdhsa_exception_fp_ieee_overflow 0
		.amdhsa_exception_fp_ieee_underflow 0
		.amdhsa_exception_fp_ieee_inexact 0
		.amdhsa_exception_int_div_zero 0
	.end_amdhsa_kernel
	.section	.text._Z20warp_exchange_kernelILj5ELj32EN6common18BlockedToStripedOpEdEvPT2_S3_b,"axG",@progbits,_Z20warp_exchange_kernelILj5ELj32EN6common18BlockedToStripedOpEdEvPT2_S3_b,comdat
.Lfunc_end49:
	.size	_Z20warp_exchange_kernelILj5ELj32EN6common18BlockedToStripedOpEdEvPT2_S3_b, .Lfunc_end49-_Z20warp_exchange_kernelILj5ELj32EN6common18BlockedToStripedOpEdEvPT2_S3_b
                                        ; -- End function
	.section	.AMDGPU.csdata,"",@progbits
; Kernel info:
; codeLenInByte = 276
; NumSgprs: 14
; NumVgprs: 16
; NumAgprs: 0
; TotalNumVgprs: 16
; ScratchSize: 0
; MemoryBound: 1
; FloatMode: 240
; IeeeMode: 1
; LDSByteSize: 5120 bytes/workgroup (compile time only)
; SGPRBlocks: 1
; VGPRBlocks: 1
; NumSGPRsForWavesPerEU: 14
; NumVGPRsForWavesPerEU: 16
; AccumOffset: 16
; Occupancy: 8
; WaveLimiterHint : 1
; COMPUTE_PGM_RSRC2:SCRATCH_EN: 0
; COMPUTE_PGM_RSRC2:USER_SGPR: 2
; COMPUTE_PGM_RSRC2:TRAP_HANDLER: 0
; COMPUTE_PGM_RSRC2:TGID_X_EN: 1
; COMPUTE_PGM_RSRC2:TGID_Y_EN: 0
; COMPUTE_PGM_RSRC2:TGID_Z_EN: 0
; COMPUTE_PGM_RSRC2:TIDIG_COMP_CNT: 0
; COMPUTE_PGM_RSRC3_GFX90A:ACCUM_OFFSET: 3
; COMPUTE_PGM_RSRC3_GFX90A:TG_SPLIT: 0
	.section	.text._Z20warp_exchange_kernelILj4ELj32EN6common18BlockedToStripedOpEfEvPT2_S3_b,"axG",@progbits,_Z20warp_exchange_kernelILj4ELj32EN6common18BlockedToStripedOpEfEvPT2_S3_b,comdat
	.protected	_Z20warp_exchange_kernelILj4ELj32EN6common18BlockedToStripedOpEfEvPT2_S3_b ; -- Begin function _Z20warp_exchange_kernelILj4ELj32EN6common18BlockedToStripedOpEfEvPT2_S3_b
	.globl	_Z20warp_exchange_kernelILj4ELj32EN6common18BlockedToStripedOpEfEvPT2_S3_b
	.p2align	8
	.type	_Z20warp_exchange_kernelILj4ELj32EN6common18BlockedToStripedOpEfEvPT2_S3_b,@function
_Z20warp_exchange_kernelILj4ELj32EN6common18BlockedToStripedOpEfEvPT2_S3_b: ; @_Z20warp_exchange_kernelILj4ELj32EN6common18BlockedToStripedOpEfEvPT2_S3_b
; %bb.0:
	s_load_dwordx4 s[4:7], s[0:1], 0x0
	s_load_dword s2, s[0:1], 0x10
	v_lshlrev_b32_e32 v1, 4, v0
	v_lshrrev_b32_e32 v7, 5, v0
	s_waitcnt lgkmcnt(0)
	global_load_dwordx4 v[2:5], v1, s[4:5]
	v_lshlrev_b32_e32 v1, 2, v0
	v_mbcnt_lo_u32_b32 v0, -1, 0
	v_mbcnt_hi_u32_b32 v0, -1, v0
	v_and_b32_e32 v0, 31, v0
	s_bitcmp0_b32 s2, 0
	v_lshlrev_b32_e32 v8, 2, v0
	s_cbranch_scc0 .LBB50_2
; %bb.1:
	v_mov_b32_e32 v6, 0x400
	v_lshl_add_u32 v6, v7, 9, v6
	v_lshl_or_b32 v9, v8, 2, v6
	s_waitcnt vmcnt(0)
	ds_write_b128 v9, v[2:5]
	; wave barrier
	s_cbranch_execz .LBB50_3
	s_branch .LBB50_4
.LBB50_2:
                                        ; implicit-def: $vgpr6
.LBB50_3:
	v_lshlrev_b32_e32 v6, 9, v7
	v_lshl_or_b32 v7, v8, 2, v6
	s_waitcnt vmcnt(0)
	ds_write_b128 v7, v[2:5]
	; wave barrier
.LBB50_4:
	v_lshl_add_u32 v0, v0, 2, v6
	s_waitcnt vmcnt(0)
	ds_read2_b32 v[2:3], v0 offset1:32
	ds_read2_b32 v[4:5], v0 offset0:64 offset1:96
	v_lshlrev_b32_e32 v0, 2, v1
	s_waitcnt lgkmcnt(0)
	global_store_dwordx4 v0, v[2:5], s[6:7]
	s_endpgm
	.section	.rodata,"a",@progbits
	.p2align	6, 0x0
	.amdhsa_kernel _Z20warp_exchange_kernelILj4ELj32EN6common18BlockedToStripedOpEfEvPT2_S3_b
		.amdhsa_group_segment_fixed_size 2048
		.amdhsa_private_segment_fixed_size 0
		.amdhsa_kernarg_size 20
		.amdhsa_user_sgpr_count 2
		.amdhsa_user_sgpr_dispatch_ptr 0
		.amdhsa_user_sgpr_queue_ptr 0
		.amdhsa_user_sgpr_kernarg_segment_ptr 1
		.amdhsa_user_sgpr_dispatch_id 0
		.amdhsa_user_sgpr_kernarg_preload_length 0
		.amdhsa_user_sgpr_kernarg_preload_offset 0
		.amdhsa_user_sgpr_private_segment_size 0
		.amdhsa_uses_dynamic_stack 0
		.amdhsa_enable_private_segment 0
		.amdhsa_system_sgpr_workgroup_id_x 1
		.amdhsa_system_sgpr_workgroup_id_y 0
		.amdhsa_system_sgpr_workgroup_id_z 0
		.amdhsa_system_sgpr_workgroup_info 0
		.amdhsa_system_vgpr_workitem_id 0
		.amdhsa_next_free_vgpr 10
		.amdhsa_next_free_sgpr 8
		.amdhsa_accum_offset 12
		.amdhsa_reserve_vcc 0
		.amdhsa_float_round_mode_32 0
		.amdhsa_float_round_mode_16_64 0
		.amdhsa_float_denorm_mode_32 3
		.amdhsa_float_denorm_mode_16_64 3
		.amdhsa_dx10_clamp 1
		.amdhsa_ieee_mode 1
		.amdhsa_fp16_overflow 0
		.amdhsa_tg_split 0
		.amdhsa_exception_fp_ieee_invalid_op 0
		.amdhsa_exception_fp_denorm_src 0
		.amdhsa_exception_fp_ieee_div_zero 0
		.amdhsa_exception_fp_ieee_overflow 0
		.amdhsa_exception_fp_ieee_underflow 0
		.amdhsa_exception_fp_ieee_inexact 0
		.amdhsa_exception_int_div_zero 0
	.end_amdhsa_kernel
	.section	.text._Z20warp_exchange_kernelILj4ELj32EN6common18BlockedToStripedOpEfEvPT2_S3_b,"axG",@progbits,_Z20warp_exchange_kernelILj4ELj32EN6common18BlockedToStripedOpEfEvPT2_S3_b,comdat
.Lfunc_end50:
	.size	_Z20warp_exchange_kernelILj4ELj32EN6common18BlockedToStripedOpEfEvPT2_S3_b, .Lfunc_end50-_Z20warp_exchange_kernelILj4ELj32EN6common18BlockedToStripedOpEfEvPT2_S3_b
                                        ; -- End function
	.section	.AMDGPU.csdata,"",@progbits
; Kernel info:
; codeLenInByte = 188
; NumSgprs: 14
; NumVgprs: 10
; NumAgprs: 0
; TotalNumVgprs: 10
; ScratchSize: 0
; MemoryBound: 0
; FloatMode: 240
; IeeeMode: 1
; LDSByteSize: 2048 bytes/workgroup (compile time only)
; SGPRBlocks: 1
; VGPRBlocks: 1
; NumSGPRsForWavesPerEU: 14
; NumVGPRsForWavesPerEU: 10
; AccumOffset: 12
; Occupancy: 8
; WaveLimiterHint : 0
; COMPUTE_PGM_RSRC2:SCRATCH_EN: 0
; COMPUTE_PGM_RSRC2:USER_SGPR: 2
; COMPUTE_PGM_RSRC2:TRAP_HANDLER: 0
; COMPUTE_PGM_RSRC2:TGID_X_EN: 1
; COMPUTE_PGM_RSRC2:TGID_Y_EN: 0
; COMPUTE_PGM_RSRC2:TGID_Z_EN: 0
; COMPUTE_PGM_RSRC2:TIDIG_COMP_CNT: 0
; COMPUTE_PGM_RSRC3_GFX90A:ACCUM_OFFSET: 2
; COMPUTE_PGM_RSRC3_GFX90A:TG_SPLIT: 0
	.section	.text._Z20warp_exchange_kernelILj4ELj64EN6common18BlockedToStripedOpElEvPT2_S3_b,"axG",@progbits,_Z20warp_exchange_kernelILj4ELj64EN6common18BlockedToStripedOpElEvPT2_S3_b,comdat
	.protected	_Z20warp_exchange_kernelILj4ELj64EN6common18BlockedToStripedOpElEvPT2_S3_b ; -- Begin function _Z20warp_exchange_kernelILj4ELj64EN6common18BlockedToStripedOpElEvPT2_S3_b
	.globl	_Z20warp_exchange_kernelILj4ELj64EN6common18BlockedToStripedOpElEvPT2_S3_b
	.p2align	8
	.type	_Z20warp_exchange_kernelILj4ELj64EN6common18BlockedToStripedOpElEvPT2_S3_b,@function
_Z20warp_exchange_kernelILj4ELj64EN6common18BlockedToStripedOpElEvPT2_S3_b: ; @_Z20warp_exchange_kernelILj4ELj64EN6common18BlockedToStripedOpElEvPT2_S3_b
; %bb.0:
	s_load_dwordx4 s[4:7], s[0:1], 0x0
	s_load_dword s2, s[0:1], 0x10
	v_lshlrev_b32_e32 v1, 5, v0
	v_lshrrev_b32_e32 v11, 6, v0
	s_waitcnt lgkmcnt(0)
	global_load_dwordx4 v[2:5], v1, s[4:5] offset:16
	global_load_dwordx4 v[6:9], v1, s[4:5]
	v_lshlrev_b32_e32 v1, 2, v0
	v_mbcnt_lo_u32_b32 v0, -1, 0
	v_mbcnt_hi_u32_b32 v0, -1, v0
	s_bitcmp0_b32 s2, 0
	v_lshlrev_b32_e32 v12, 2, v0
	s_cbranch_scc0 .LBB51_2
; %bb.1:
	v_mov_b32_e32 v10, 0x800
	v_lshl_add_u32 v10, v11, 11, v10
	v_lshl_add_u32 v13, v12, 3, v10
	s_waitcnt vmcnt(0)
	ds_write_b128 v13, v[6:9]
	ds_write_b128 v13, v[2:5] offset:16
	; wave barrier
	s_cbranch_execz .LBB51_3
	s_branch .LBB51_4
.LBB51_2:
                                        ; implicit-def: $vgpr10
.LBB51_3:
	v_lshlrev_b32_e32 v10, 11, v11
	v_lshl_add_u32 v11, v12, 3, v10
	s_waitcnt vmcnt(0)
	ds_write_b128 v11, v[6:9]
	ds_write_b128 v11, v[2:5] offset:16
	; wave barrier
.LBB51_4:
	v_lshl_add_u32 v0, v0, 3, v10
	s_waitcnt vmcnt(1)
	ds_read2st64_b64 v[2:5], v0 offset1:1
	s_waitcnt vmcnt(0)
	ds_read2st64_b64 v[6:9], v0 offset0:2 offset1:3
	v_lshlrev_b32_e32 v0, 3, v1
	s_waitcnt lgkmcnt(1)
	global_store_dwordx4 v0, v[2:5], s[6:7]
	s_waitcnt lgkmcnt(0)
	global_store_dwordx4 v0, v[6:9], s[6:7] offset:16
	s_endpgm
	.section	.rodata,"a",@progbits
	.p2align	6, 0x0
	.amdhsa_kernel _Z20warp_exchange_kernelILj4ELj64EN6common18BlockedToStripedOpElEvPT2_S3_b
		.amdhsa_group_segment_fixed_size 4096
		.amdhsa_private_segment_fixed_size 0
		.amdhsa_kernarg_size 20
		.amdhsa_user_sgpr_count 2
		.amdhsa_user_sgpr_dispatch_ptr 0
		.amdhsa_user_sgpr_queue_ptr 0
		.amdhsa_user_sgpr_kernarg_segment_ptr 1
		.amdhsa_user_sgpr_dispatch_id 0
		.amdhsa_user_sgpr_kernarg_preload_length 0
		.amdhsa_user_sgpr_kernarg_preload_offset 0
		.amdhsa_user_sgpr_private_segment_size 0
		.amdhsa_uses_dynamic_stack 0
		.amdhsa_enable_private_segment 0
		.amdhsa_system_sgpr_workgroup_id_x 1
		.amdhsa_system_sgpr_workgroup_id_y 0
		.amdhsa_system_sgpr_workgroup_id_z 0
		.amdhsa_system_sgpr_workgroup_info 0
		.amdhsa_system_vgpr_workitem_id 0
		.amdhsa_next_free_vgpr 14
		.amdhsa_next_free_sgpr 8
		.amdhsa_accum_offset 16
		.amdhsa_reserve_vcc 0
		.amdhsa_float_round_mode_32 0
		.amdhsa_float_round_mode_16_64 0
		.amdhsa_float_denorm_mode_32 3
		.amdhsa_float_denorm_mode_16_64 3
		.amdhsa_dx10_clamp 1
		.amdhsa_ieee_mode 1
		.amdhsa_fp16_overflow 0
		.amdhsa_tg_split 0
		.amdhsa_exception_fp_ieee_invalid_op 0
		.amdhsa_exception_fp_denorm_src 0
		.amdhsa_exception_fp_ieee_div_zero 0
		.amdhsa_exception_fp_ieee_overflow 0
		.amdhsa_exception_fp_ieee_underflow 0
		.amdhsa_exception_fp_ieee_inexact 0
		.amdhsa_exception_int_div_zero 0
	.end_amdhsa_kernel
	.section	.text._Z20warp_exchange_kernelILj4ELj64EN6common18BlockedToStripedOpElEvPT2_S3_b,"axG",@progbits,_Z20warp_exchange_kernelILj4ELj64EN6common18BlockedToStripedOpElEvPT2_S3_b,comdat
.Lfunc_end51:
	.size	_Z20warp_exchange_kernelILj4ELj64EN6common18BlockedToStripedOpElEvPT2_S3_b, .Lfunc_end51-_Z20warp_exchange_kernelILj4ELj64EN6common18BlockedToStripedOpElEvPT2_S3_b
                                        ; -- End function
	.section	.AMDGPU.csdata,"",@progbits
; Kernel info:
; codeLenInByte = 224
; NumSgprs: 14
; NumVgprs: 14
; NumAgprs: 0
; TotalNumVgprs: 14
; ScratchSize: 0
; MemoryBound: 0
; FloatMode: 240
; IeeeMode: 1
; LDSByteSize: 4096 bytes/workgroup (compile time only)
; SGPRBlocks: 1
; VGPRBlocks: 1
; NumSGPRsForWavesPerEU: 14
; NumVGPRsForWavesPerEU: 14
; AccumOffset: 16
; Occupancy: 8
; WaveLimiterHint : 0
; COMPUTE_PGM_RSRC2:SCRATCH_EN: 0
; COMPUTE_PGM_RSRC2:USER_SGPR: 2
; COMPUTE_PGM_RSRC2:TRAP_HANDLER: 0
; COMPUTE_PGM_RSRC2:TGID_X_EN: 1
; COMPUTE_PGM_RSRC2:TGID_Y_EN: 0
; COMPUTE_PGM_RSRC2:TGID_Z_EN: 0
; COMPUTE_PGM_RSRC2:TIDIG_COMP_CNT: 0
; COMPUTE_PGM_RSRC3_GFX90A:ACCUM_OFFSET: 3
; COMPUTE_PGM_RSRC3_GFX90A:TG_SPLIT: 0
	.section	.text._Z20warp_exchange_kernelILj2ELj32EN6common18BlockedToStripedOpEsEvPT2_S3_b,"axG",@progbits,_Z20warp_exchange_kernelILj2ELj32EN6common18BlockedToStripedOpEsEvPT2_S3_b,comdat
	.protected	_Z20warp_exchange_kernelILj2ELj32EN6common18BlockedToStripedOpEsEvPT2_S3_b ; -- Begin function _Z20warp_exchange_kernelILj2ELj32EN6common18BlockedToStripedOpEsEvPT2_S3_b
	.globl	_Z20warp_exchange_kernelILj2ELj32EN6common18BlockedToStripedOpEsEvPT2_S3_b
	.p2align	8
	.type	_Z20warp_exchange_kernelILj2ELj32EN6common18BlockedToStripedOpEsEvPT2_S3_b,@function
_Z20warp_exchange_kernelILj2ELj32EN6common18BlockedToStripedOpEsEvPT2_S3_b: ; @_Z20warp_exchange_kernelILj2ELj32EN6common18BlockedToStripedOpEsEvPT2_S3_b
; %bb.0:
	s_load_dwordx4 s[4:7], s[0:1], 0x0
	s_load_dword s2, s[0:1], 0x10
	v_lshlrev_b32_e32 v1, 2, v0
	v_lshrrev_b32_e32 v4, 5, v0
	s_waitcnt lgkmcnt(0)
	global_load_dword v2, v1, s[4:5]
	v_lshlrev_b32_e32 v1, 1, v0
	v_mbcnt_lo_u32_b32 v0, -1, 0
	v_mbcnt_hi_u32_b32 v0, -1, v0
	v_and_b32_e32 v0, 31, v0
	s_bitcmp0_b32 s2, 0
	v_lshlrev_b32_e32 v5, 1, v0
	s_cbranch_scc0 .LBB52_2
; %bb.1:
	v_mov_b32_e32 v3, 0x100
	v_lshl_add_u32 v3, v4, 7, v3
	v_lshl_or_b32 v6, v5, 1, v3
	s_waitcnt vmcnt(0)
	ds_write_b32 v6, v2
	; wave barrier
	s_cbranch_execz .LBB52_3
	s_branch .LBB52_4
.LBB52_2:
                                        ; implicit-def: $vgpr3
.LBB52_3:
	v_lshlrev_b32_e32 v3, 7, v4
	v_lshl_or_b32 v4, v5, 1, v3
	s_waitcnt vmcnt(0)
	ds_write_b32 v4, v2
	; wave barrier
.LBB52_4:
	v_lshl_add_u32 v0, v0, 1, v3
	s_waitcnt vmcnt(0)
	ds_read_u16 v2, v0
	ds_read_u16 v0, v0 offset:64
	s_mov_b32 s0, 0x5040100
	v_lshlrev_b32_e32 v1, 1, v1
	s_waitcnt lgkmcnt(0)
	v_perm_b32 v0, v0, v2, s0
	global_store_dword v1, v0, s[6:7]
	s_endpgm
	.section	.rodata,"a",@progbits
	.p2align	6, 0x0
	.amdhsa_kernel _Z20warp_exchange_kernelILj2ELj32EN6common18BlockedToStripedOpEsEvPT2_S3_b
		.amdhsa_group_segment_fixed_size 512
		.amdhsa_private_segment_fixed_size 0
		.amdhsa_kernarg_size 20
		.amdhsa_user_sgpr_count 2
		.amdhsa_user_sgpr_dispatch_ptr 0
		.amdhsa_user_sgpr_queue_ptr 0
		.amdhsa_user_sgpr_kernarg_segment_ptr 1
		.amdhsa_user_sgpr_dispatch_id 0
		.amdhsa_user_sgpr_kernarg_preload_length 0
		.amdhsa_user_sgpr_kernarg_preload_offset 0
		.amdhsa_user_sgpr_private_segment_size 0
		.amdhsa_uses_dynamic_stack 0
		.amdhsa_enable_private_segment 0
		.amdhsa_system_sgpr_workgroup_id_x 1
		.amdhsa_system_sgpr_workgroup_id_y 0
		.amdhsa_system_sgpr_workgroup_id_z 0
		.amdhsa_system_sgpr_workgroup_info 0
		.amdhsa_system_vgpr_workitem_id 0
		.amdhsa_next_free_vgpr 7
		.amdhsa_next_free_sgpr 8
		.amdhsa_accum_offset 8
		.amdhsa_reserve_vcc 0
		.amdhsa_float_round_mode_32 0
		.amdhsa_float_round_mode_16_64 0
		.amdhsa_float_denorm_mode_32 3
		.amdhsa_float_denorm_mode_16_64 3
		.amdhsa_dx10_clamp 1
		.amdhsa_ieee_mode 1
		.amdhsa_fp16_overflow 0
		.amdhsa_tg_split 0
		.amdhsa_exception_fp_ieee_invalid_op 0
		.amdhsa_exception_fp_denorm_src 0
		.amdhsa_exception_fp_ieee_div_zero 0
		.amdhsa_exception_fp_ieee_overflow 0
		.amdhsa_exception_fp_ieee_underflow 0
		.amdhsa_exception_fp_ieee_inexact 0
		.amdhsa_exception_int_div_zero 0
	.end_amdhsa_kernel
	.section	.text._Z20warp_exchange_kernelILj2ELj32EN6common18BlockedToStripedOpEsEvPT2_S3_b,"axG",@progbits,_Z20warp_exchange_kernelILj2ELj32EN6common18BlockedToStripedOpEsEvPT2_S3_b,comdat
.Lfunc_end52:
	.size	_Z20warp_exchange_kernelILj2ELj32EN6common18BlockedToStripedOpEsEvPT2_S3_b, .Lfunc_end52-_Z20warp_exchange_kernelILj2ELj32EN6common18BlockedToStripedOpEsEvPT2_S3_b
                                        ; -- End function
	.section	.AMDGPU.csdata,"",@progbits
; Kernel info:
; codeLenInByte = 204
; NumSgprs: 14
; NumVgprs: 7
; NumAgprs: 0
; TotalNumVgprs: 7
; ScratchSize: 0
; MemoryBound: 0
; FloatMode: 240
; IeeeMode: 1
; LDSByteSize: 512 bytes/workgroup (compile time only)
; SGPRBlocks: 1
; VGPRBlocks: 0
; NumSGPRsForWavesPerEU: 14
; NumVGPRsForWavesPerEU: 7
; AccumOffset: 8
; Occupancy: 8
; WaveLimiterHint : 0
; COMPUTE_PGM_RSRC2:SCRATCH_EN: 0
; COMPUTE_PGM_RSRC2:USER_SGPR: 2
; COMPUTE_PGM_RSRC2:TRAP_HANDLER: 0
; COMPUTE_PGM_RSRC2:TGID_X_EN: 1
; COMPUTE_PGM_RSRC2:TGID_Y_EN: 0
; COMPUTE_PGM_RSRC2:TGID_Z_EN: 0
; COMPUTE_PGM_RSRC2:TIDIG_COMP_CNT: 0
; COMPUTE_PGM_RSRC3_GFX90A:ACCUM_OFFSET: 1
; COMPUTE_PGM_RSRC3_GFX90A:TG_SPLIT: 0
	.section	.text._Z20warp_exchange_kernelILj4ELj16EN6common18BlockedToStripedOpEaEvPT2_S3_b,"axG",@progbits,_Z20warp_exchange_kernelILj4ELj16EN6common18BlockedToStripedOpEaEvPT2_S3_b,comdat
	.protected	_Z20warp_exchange_kernelILj4ELj16EN6common18BlockedToStripedOpEaEvPT2_S3_b ; -- Begin function _Z20warp_exchange_kernelILj4ELj16EN6common18BlockedToStripedOpEaEvPT2_S3_b
	.globl	_Z20warp_exchange_kernelILj4ELj16EN6common18BlockedToStripedOpEaEvPT2_S3_b
	.p2align	8
	.type	_Z20warp_exchange_kernelILj4ELj16EN6common18BlockedToStripedOpEaEvPT2_S3_b,@function
_Z20warp_exchange_kernelILj4ELj16EN6common18BlockedToStripedOpEaEvPT2_S3_b: ; @_Z20warp_exchange_kernelILj4ELj16EN6common18BlockedToStripedOpEaEvPT2_S3_b
; %bb.0:
	s_load_dwordx4 s[4:7], s[0:1], 0x0
	s_load_dword s2, s[0:1], 0x10
	v_lshlrev_b32_e32 v2, 2, v0
	v_lshrrev_b32_e32 v5, 4, v0
	v_mbcnt_lo_u32_b32 v0, -1, 0
	s_waitcnt lgkmcnt(0)
	global_load_dword v1, v2, s[4:5]
	v_mbcnt_hi_u32_b32 v0, -1, v0
	v_and_b32_e32 v0, 15, v0
	s_bitcmp0_b32 s2, 0
	v_mov_b32_e32 v3, 0
	v_lshlrev_b32_e32 v6, 2, v0
	s_cbranch_scc0 .LBB53_2
; %bb.1:
	v_mov_b32_e32 v4, 0x100
	v_lshl_add_u32 v4, v5, 6, v4
	v_or_b32_e32 v7, v4, v6
	s_waitcnt vmcnt(0)
	ds_write_b32 v7, v1
	; wave barrier
	s_cbranch_execz .LBB53_3
	s_branch .LBB53_4
.LBB53_2:
                                        ; implicit-def: $vgpr4
.LBB53_3:
	v_lshlrev_b32_e32 v4, 6, v5
	v_or_b32_e32 v5, v4, v6
	s_waitcnt vmcnt(0)
	ds_write_b32 v5, v1
	; wave barrier
.LBB53_4:
	v_add_u32_e32 v0, v4, v0
	ds_read_u8 v4, v0 offset:16
	ds_read_u8 v5, v0
	ds_read_u8 v6, v0 offset:48
	ds_read_u8 v7, v0 offset:32
	s_waitcnt vmcnt(0)
	v_lshl_add_u64 v[0:1], s[6:7], 0, v[2:3]
	s_waitcnt lgkmcnt(3)
	v_lshlrev_b16_e32 v2, 8, v4
	s_waitcnt lgkmcnt(2)
	v_or_b32_e32 v2, v5, v2
	s_waitcnt lgkmcnt(1)
	v_lshlrev_b16_e32 v3, 8, v6
	s_waitcnt lgkmcnt(0)
	v_or_b32_sdwa v3, v7, v3 dst_sel:WORD_1 dst_unused:UNUSED_PAD src0_sel:DWORD src1_sel:DWORD
	s_nop 0
	v_or_b32_sdwa v2, v2, v3 dst_sel:DWORD dst_unused:UNUSED_PAD src0_sel:WORD_0 src1_sel:DWORD
	global_store_dword v[0:1], v2, off
	s_endpgm
	.section	.rodata,"a",@progbits
	.p2align	6, 0x0
	.amdhsa_kernel _Z20warp_exchange_kernelILj4ELj16EN6common18BlockedToStripedOpEaEvPT2_S3_b
		.amdhsa_group_segment_fixed_size 512
		.amdhsa_private_segment_fixed_size 0
		.amdhsa_kernarg_size 20
		.amdhsa_user_sgpr_count 2
		.amdhsa_user_sgpr_dispatch_ptr 0
		.amdhsa_user_sgpr_queue_ptr 0
		.amdhsa_user_sgpr_kernarg_segment_ptr 1
		.amdhsa_user_sgpr_dispatch_id 0
		.amdhsa_user_sgpr_kernarg_preload_length 0
		.amdhsa_user_sgpr_kernarg_preload_offset 0
		.amdhsa_user_sgpr_private_segment_size 0
		.amdhsa_uses_dynamic_stack 0
		.amdhsa_enable_private_segment 0
		.amdhsa_system_sgpr_workgroup_id_x 1
		.amdhsa_system_sgpr_workgroup_id_y 0
		.amdhsa_system_sgpr_workgroup_id_z 0
		.amdhsa_system_sgpr_workgroup_info 0
		.amdhsa_system_vgpr_workitem_id 0
		.amdhsa_next_free_vgpr 8
		.amdhsa_next_free_sgpr 8
		.amdhsa_accum_offset 8
		.amdhsa_reserve_vcc 0
		.amdhsa_float_round_mode_32 0
		.amdhsa_float_round_mode_16_64 0
		.amdhsa_float_denorm_mode_32 3
		.amdhsa_float_denorm_mode_16_64 3
		.amdhsa_dx10_clamp 1
		.amdhsa_ieee_mode 1
		.amdhsa_fp16_overflow 0
		.amdhsa_tg_split 0
		.amdhsa_exception_fp_ieee_invalid_op 0
		.amdhsa_exception_fp_denorm_src 0
		.amdhsa_exception_fp_ieee_div_zero 0
		.amdhsa_exception_fp_ieee_overflow 0
		.amdhsa_exception_fp_ieee_underflow 0
		.amdhsa_exception_fp_ieee_inexact 0
		.amdhsa_exception_int_div_zero 0
	.end_amdhsa_kernel
	.section	.text._Z20warp_exchange_kernelILj4ELj16EN6common18BlockedToStripedOpEaEvPT2_S3_b,"axG",@progbits,_Z20warp_exchange_kernelILj4ELj16EN6common18BlockedToStripedOpEaEvPT2_S3_b,comdat
.Lfunc_end53:
	.size	_Z20warp_exchange_kernelILj4ELj16EN6common18BlockedToStripedOpEaEvPT2_S3_b, .Lfunc_end53-_Z20warp_exchange_kernelILj4ELj16EN6common18BlockedToStripedOpEaEvPT2_S3_b
                                        ; -- End function
	.section	.AMDGPU.csdata,"",@progbits
; Kernel info:
; codeLenInByte = 240
; NumSgprs: 14
; NumVgprs: 8
; NumAgprs: 0
; TotalNumVgprs: 8
; ScratchSize: 0
; MemoryBound: 0
; FloatMode: 240
; IeeeMode: 1
; LDSByteSize: 512 bytes/workgroup (compile time only)
; SGPRBlocks: 1
; VGPRBlocks: 0
; NumSGPRsForWavesPerEU: 14
; NumVGPRsForWavesPerEU: 8
; AccumOffset: 8
; Occupancy: 8
; WaveLimiterHint : 0
; COMPUTE_PGM_RSRC2:SCRATCH_EN: 0
; COMPUTE_PGM_RSRC2:USER_SGPR: 2
; COMPUTE_PGM_RSRC2:TRAP_HANDLER: 0
; COMPUTE_PGM_RSRC2:TGID_X_EN: 1
; COMPUTE_PGM_RSRC2:TGID_Y_EN: 0
; COMPUTE_PGM_RSRC2:TGID_Z_EN: 0
; COMPUTE_PGM_RSRC2:TIDIG_COMP_CNT: 0
; COMPUTE_PGM_RSRC3_GFX90A:ACCUM_OFFSET: 1
; COMPUTE_PGM_RSRC3_GFX90A:TG_SPLIT: 0
	.section	.text._Z20warp_exchange_kernelILj4ELj8EN6common18BlockedToStripedOpEiEvPT2_S3_b,"axG",@progbits,_Z20warp_exchange_kernelILj4ELj8EN6common18BlockedToStripedOpEiEvPT2_S3_b,comdat
	.protected	_Z20warp_exchange_kernelILj4ELj8EN6common18BlockedToStripedOpEiEvPT2_S3_b ; -- Begin function _Z20warp_exchange_kernelILj4ELj8EN6common18BlockedToStripedOpEiEvPT2_S3_b
	.globl	_Z20warp_exchange_kernelILj4ELj8EN6common18BlockedToStripedOpEiEvPT2_S3_b
	.p2align	8
	.type	_Z20warp_exchange_kernelILj4ELj8EN6common18BlockedToStripedOpEiEvPT2_S3_b,@function
_Z20warp_exchange_kernelILj4ELj8EN6common18BlockedToStripedOpEiEvPT2_S3_b: ; @_Z20warp_exchange_kernelILj4ELj8EN6common18BlockedToStripedOpEiEvPT2_S3_b
; %bb.0:
	s_load_dwordx4 s[4:7], s[0:1], 0x0
	s_load_dword s2, s[0:1], 0x10
	v_lshlrev_b32_e32 v1, 4, v0
	v_lshrrev_b32_e32 v7, 3, v0
	s_waitcnt lgkmcnt(0)
	global_load_dwordx4 v[2:5], v1, s[4:5]
	v_lshlrev_b32_e32 v1, 2, v0
	v_mbcnt_lo_u32_b32 v0, -1, 0
	v_mbcnt_hi_u32_b32 v0, -1, v0
	v_and_b32_e32 v0, 7, v0
	s_bitcmp0_b32 s2, 0
	v_lshlrev_b32_e32 v8, 2, v0
	s_cbranch_scc0 .LBB54_2
; %bb.1:
	v_mov_b32_e32 v6, 0x400
	v_lshl_add_u32 v6, v7, 7, v6
	v_lshl_or_b32 v9, v8, 2, v6
	s_waitcnt vmcnt(0)
	ds_write_b128 v9, v[2:5]
	; wave barrier
	s_cbranch_execz .LBB54_3
	s_branch .LBB54_4
.LBB54_2:
                                        ; implicit-def: $vgpr6
.LBB54_3:
	v_lshlrev_b32_e32 v6, 7, v7
	v_lshl_or_b32 v7, v8, 2, v6
	s_waitcnt vmcnt(0)
	ds_write_b128 v7, v[2:5]
	; wave barrier
.LBB54_4:
	v_lshl_add_u32 v0, v0, 2, v6
	s_waitcnt vmcnt(0)
	ds_read2_b32 v[2:3], v0 offset1:8
	ds_read2_b32 v[4:5], v0 offset0:16 offset1:24
	v_lshlrev_b32_e32 v0, 2, v1
	s_waitcnt lgkmcnt(0)
	global_store_dwordx4 v0, v[2:5], s[6:7]
	s_endpgm
	.section	.rodata,"a",@progbits
	.p2align	6, 0x0
	.amdhsa_kernel _Z20warp_exchange_kernelILj4ELj8EN6common18BlockedToStripedOpEiEvPT2_S3_b
		.amdhsa_group_segment_fixed_size 2048
		.amdhsa_private_segment_fixed_size 0
		.amdhsa_kernarg_size 20
		.amdhsa_user_sgpr_count 2
		.amdhsa_user_sgpr_dispatch_ptr 0
		.amdhsa_user_sgpr_queue_ptr 0
		.amdhsa_user_sgpr_kernarg_segment_ptr 1
		.amdhsa_user_sgpr_dispatch_id 0
		.amdhsa_user_sgpr_kernarg_preload_length 0
		.amdhsa_user_sgpr_kernarg_preload_offset 0
		.amdhsa_user_sgpr_private_segment_size 0
		.amdhsa_uses_dynamic_stack 0
		.amdhsa_enable_private_segment 0
		.amdhsa_system_sgpr_workgroup_id_x 1
		.amdhsa_system_sgpr_workgroup_id_y 0
		.amdhsa_system_sgpr_workgroup_id_z 0
		.amdhsa_system_sgpr_workgroup_info 0
		.amdhsa_system_vgpr_workitem_id 0
		.amdhsa_next_free_vgpr 10
		.amdhsa_next_free_sgpr 8
		.amdhsa_accum_offset 12
		.amdhsa_reserve_vcc 0
		.amdhsa_float_round_mode_32 0
		.amdhsa_float_round_mode_16_64 0
		.amdhsa_float_denorm_mode_32 3
		.amdhsa_float_denorm_mode_16_64 3
		.amdhsa_dx10_clamp 1
		.amdhsa_ieee_mode 1
		.amdhsa_fp16_overflow 0
		.amdhsa_tg_split 0
		.amdhsa_exception_fp_ieee_invalid_op 0
		.amdhsa_exception_fp_denorm_src 0
		.amdhsa_exception_fp_ieee_div_zero 0
		.amdhsa_exception_fp_ieee_overflow 0
		.amdhsa_exception_fp_ieee_underflow 0
		.amdhsa_exception_fp_ieee_inexact 0
		.amdhsa_exception_int_div_zero 0
	.end_amdhsa_kernel
	.section	.text._Z20warp_exchange_kernelILj4ELj8EN6common18BlockedToStripedOpEiEvPT2_S3_b,"axG",@progbits,_Z20warp_exchange_kernelILj4ELj8EN6common18BlockedToStripedOpEiEvPT2_S3_b,comdat
.Lfunc_end54:
	.size	_Z20warp_exchange_kernelILj4ELj8EN6common18BlockedToStripedOpEiEvPT2_S3_b, .Lfunc_end54-_Z20warp_exchange_kernelILj4ELj8EN6common18BlockedToStripedOpEiEvPT2_S3_b
                                        ; -- End function
	.section	.AMDGPU.csdata,"",@progbits
; Kernel info:
; codeLenInByte = 188
; NumSgprs: 14
; NumVgprs: 10
; NumAgprs: 0
; TotalNumVgprs: 10
; ScratchSize: 0
; MemoryBound: 0
; FloatMode: 240
; IeeeMode: 1
; LDSByteSize: 2048 bytes/workgroup (compile time only)
; SGPRBlocks: 1
; VGPRBlocks: 1
; NumSGPRsForWavesPerEU: 14
; NumVGPRsForWavesPerEU: 10
; AccumOffset: 12
; Occupancy: 8
; WaveLimiterHint : 0
; COMPUTE_PGM_RSRC2:SCRATCH_EN: 0
; COMPUTE_PGM_RSRC2:USER_SGPR: 2
; COMPUTE_PGM_RSRC2:TRAP_HANDLER: 0
; COMPUTE_PGM_RSRC2:TGID_X_EN: 1
; COMPUTE_PGM_RSRC2:TGID_Y_EN: 0
; COMPUTE_PGM_RSRC2:TGID_Z_EN: 0
; COMPUTE_PGM_RSRC2:TIDIG_COMP_CNT: 0
; COMPUTE_PGM_RSRC3_GFX90A:ACCUM_OFFSET: 2
; COMPUTE_PGM_RSRC3_GFX90A:TG_SPLIT: 0
	.section	.text._Z28warp_exchange_scatter_kernelILj4ELj64EitEvPT1_S1_PT2_,"axG",@progbits,_Z28warp_exchange_scatter_kernelILj4ELj64EitEvPT1_S1_PT2_,comdat
	.protected	_Z28warp_exchange_scatter_kernelILj4ELj64EitEvPT1_S1_PT2_ ; -- Begin function _Z28warp_exchange_scatter_kernelILj4ELj64EitEvPT1_S1_PT2_
	.globl	_Z28warp_exchange_scatter_kernelILj4ELj64EitEvPT1_S1_PT2_
	.p2align	8
	.type	_Z28warp_exchange_scatter_kernelILj4ELj64EitEvPT1_S1_PT2_,@function
_Z28warp_exchange_scatter_kernelILj4ELj64EitEvPT1_S1_PT2_: ; @_Z28warp_exchange_scatter_kernelILj4ELj64EitEvPT1_S1_PT2_
; %bb.0:
	s_load_dwordx2 s[2:3], s[0:1], 0x10
	v_lshlrev_b32_e32 v1, 3, v0
	v_lshlrev_b32_e32 v6, 4, v0
	v_mbcnt_lo_u32_b32 v7, -1, 0
	v_mbcnt_hi_u32_b32 v7, -1, v7
	s_waitcnt lgkmcnt(0)
	global_load_dwordx2 v[4:5], v1, s[2:3]
	s_load_dwordx4 s[0:3], s[0:1], 0x0
	v_and_b32_e32 v8, 0x3c00, v6
	v_lshl_or_b32 v7, v7, 2, v8
	s_waitcnt lgkmcnt(0)
	global_load_dwordx4 v[0:3], v6, s[0:1]
	s_waitcnt vmcnt(1)
	v_and_b32_e32 v9, 0xffff, v4
	v_bfe_u32 v4, v4, 16, 16
	v_and_b32_e32 v10, 0xffff, v5
	v_bfe_u32 v5, v5, 16, 16
	v_lshl_add_u32 v9, v9, 2, v8
	v_lshl_add_u32 v4, v4, 2, v8
	;; [unrolled: 1-line block ×4, first 2 shown]
	s_waitcnt vmcnt(0)
	ds_write_b32 v9, v0
	ds_write_b32 v4, v1
	;; [unrolled: 1-line block ×4, first 2 shown]
	; wave barrier
	ds_read2st64_b32 v[0:1], v7 offset1:1
	ds_read2st64_b32 v[2:3], v7 offset0:2 offset1:3
	s_waitcnt lgkmcnt(0)
	global_store_dwordx4 v6, v[0:3], s[2:3]
	s_endpgm
	.section	.rodata,"a",@progbits
	.p2align	6, 0x0
	.amdhsa_kernel _Z28warp_exchange_scatter_kernelILj4ELj64EitEvPT1_S1_PT2_
		.amdhsa_group_segment_fixed_size 1024
		.amdhsa_private_segment_fixed_size 0
		.amdhsa_kernarg_size 24
		.amdhsa_user_sgpr_count 2
		.amdhsa_user_sgpr_dispatch_ptr 0
		.amdhsa_user_sgpr_queue_ptr 0
		.amdhsa_user_sgpr_kernarg_segment_ptr 1
		.amdhsa_user_sgpr_dispatch_id 0
		.amdhsa_user_sgpr_kernarg_preload_length 0
		.amdhsa_user_sgpr_kernarg_preload_offset 0
		.amdhsa_user_sgpr_private_segment_size 0
		.amdhsa_uses_dynamic_stack 0
		.amdhsa_enable_private_segment 0
		.amdhsa_system_sgpr_workgroup_id_x 1
		.amdhsa_system_sgpr_workgroup_id_y 0
		.amdhsa_system_sgpr_workgroup_id_z 0
		.amdhsa_system_sgpr_workgroup_info 0
		.amdhsa_system_vgpr_workitem_id 0
		.amdhsa_next_free_vgpr 11
		.amdhsa_next_free_sgpr 4
		.amdhsa_accum_offset 12
		.amdhsa_reserve_vcc 0
		.amdhsa_float_round_mode_32 0
		.amdhsa_float_round_mode_16_64 0
		.amdhsa_float_denorm_mode_32 3
		.amdhsa_float_denorm_mode_16_64 3
		.amdhsa_dx10_clamp 1
		.amdhsa_ieee_mode 1
		.amdhsa_fp16_overflow 0
		.amdhsa_tg_split 0
		.amdhsa_exception_fp_ieee_invalid_op 0
		.amdhsa_exception_fp_denorm_src 0
		.amdhsa_exception_fp_ieee_div_zero 0
		.amdhsa_exception_fp_ieee_overflow 0
		.amdhsa_exception_fp_ieee_underflow 0
		.amdhsa_exception_fp_ieee_inexact 0
		.amdhsa_exception_int_div_zero 0
	.end_amdhsa_kernel
	.section	.text._Z28warp_exchange_scatter_kernelILj4ELj64EitEvPT1_S1_PT2_,"axG",@progbits,_Z28warp_exchange_scatter_kernelILj4ELj64EitEvPT1_S1_PT2_,comdat
.Lfunc_end55:
	.size	_Z28warp_exchange_scatter_kernelILj4ELj64EitEvPT1_S1_PT2_, .Lfunc_end55-_Z28warp_exchange_scatter_kernelILj4ELj64EitEvPT1_S1_PT2_
                                        ; -- End function
	.section	.AMDGPU.csdata,"",@progbits
; Kernel info:
; codeLenInByte = 216
; NumSgprs: 10
; NumVgprs: 11
; NumAgprs: 0
; TotalNumVgprs: 11
; ScratchSize: 0
; MemoryBound: 0
; FloatMode: 240
; IeeeMode: 1
; LDSByteSize: 1024 bytes/workgroup (compile time only)
; SGPRBlocks: 1
; VGPRBlocks: 1
; NumSGPRsForWavesPerEU: 10
; NumVGPRsForWavesPerEU: 11
; AccumOffset: 12
; Occupancy: 8
; WaveLimiterHint : 0
; COMPUTE_PGM_RSRC2:SCRATCH_EN: 0
; COMPUTE_PGM_RSRC2:USER_SGPR: 2
; COMPUTE_PGM_RSRC2:TRAP_HANDLER: 0
; COMPUTE_PGM_RSRC2:TGID_X_EN: 1
; COMPUTE_PGM_RSRC2:TGID_Y_EN: 0
; COMPUTE_PGM_RSRC2:TGID_Z_EN: 0
; COMPUTE_PGM_RSRC2:TIDIG_COMP_CNT: 0
; COMPUTE_PGM_RSRC3_GFX90A:ACCUM_OFFSET: 2
; COMPUTE_PGM_RSRC3_GFX90A:TG_SPLIT: 0
	.section	.text._Z28warp_exchange_scatter_kernelILj5ELj32EitEvPT1_S1_PT2_,"axG",@progbits,_Z28warp_exchange_scatter_kernelILj5ELj32EitEvPT1_S1_PT2_,comdat
	.protected	_Z28warp_exchange_scatter_kernelILj5ELj32EitEvPT1_S1_PT2_ ; -- Begin function _Z28warp_exchange_scatter_kernelILj5ELj32EitEvPT1_S1_PT2_
	.globl	_Z28warp_exchange_scatter_kernelILj5ELj32EitEvPT1_S1_PT2_
	.p2align	8
	.type	_Z28warp_exchange_scatter_kernelILj5ELj32EitEvPT1_S1_PT2_,@function
_Z28warp_exchange_scatter_kernelILj5ELj32EitEvPT1_S1_PT2_: ; @_Z28warp_exchange_scatter_kernelILj5ELj32EitEvPT1_S1_PT2_
; %bb.0:
	s_load_dwordx2 s[2:3], s[0:1], 0x10
	v_mul_u32_u24_e32 v1, 5, v0
	v_lshlrev_b32_e32 v2, 1, v1
	v_lshlrev_b32_e32 v9, 2, v1
	v_mbcnt_lo_u32_b32 v10, -1, 0
	s_waitcnt lgkmcnt(0)
	global_load_dwordx2 v[6:7], v2, s[2:3]
	global_load_ushort v8, v2, s[2:3] offset:8
	s_load_dwordx4 s[0:3], s[0:1], 0x0
	v_lshrrev_b32_e32 v0, 5, v0
	v_mbcnt_hi_u32_b32 v10, -1, v10
	v_mov_b32_e32 v11, 2
	s_waitcnt lgkmcnt(0)
	global_load_dwordx4 v[2:5], v9, s[0:1]
	global_load_dword v1, v9, s[0:1] offset:16
	v_mul_u32_u24_e32 v12, 0x280, v0
	v_and_b32_e32 v10, 31, v10
	s_movk_i32 s0, 0x280
	v_lshl_or_b32 v10, v10, 2, v12
	s_waitcnt vmcnt(3)
	v_lshlrev_b32_sdwa v12, v11, v6 dst_sel:DWORD dst_unused:UNUSED_PAD src0_sel:DWORD src1_sel:WORD_0
	v_lshlrev_b32_sdwa v6, v11, v6 dst_sel:DWORD dst_unused:UNUSED_PAD src0_sel:DWORD src1_sel:WORD_1
	v_lshlrev_b32_sdwa v13, v11, v7 dst_sel:DWORD dst_unused:UNUSED_PAD src0_sel:DWORD src1_sel:WORD_0
	v_lshlrev_b32_sdwa v7, v11, v7 dst_sel:DWORD dst_unused:UNUSED_PAD src0_sel:DWORD src1_sel:WORD_1
	s_waitcnt vmcnt(2)
	v_lshlrev_b32_e32 v8, 2, v8
	v_mad_u32_u24 v11, v0, s0, v12
	v_mad_u32_u24 v6, v0, s0, v6
	;; [unrolled: 1-line block ×5, first 2 shown]
	s_waitcnt vmcnt(1)
	ds_write_b32 v11, v2
	ds_write_b32 v6, v3
	;; [unrolled: 1-line block ×4, first 2 shown]
	s_waitcnt vmcnt(0)
	ds_write_b32 v0, v1
	; wave barrier
	ds_read2_b32 v[0:1], v10 offset1:32
	ds_read2_b32 v[2:3], v10 offset0:64 offset1:96
	ds_read_b32 v4, v10 offset:512
	s_waitcnt lgkmcnt(1)
	global_store_dwordx4 v9, v[0:3], s[2:3]
	s_waitcnt lgkmcnt(0)
	global_store_dword v9, v4, s[2:3] offset:16
	s_endpgm
	.section	.rodata,"a",@progbits
	.p2align	6, 0x0
	.amdhsa_kernel _Z28warp_exchange_scatter_kernelILj5ELj32EitEvPT1_S1_PT2_
		.amdhsa_group_segment_fixed_size 1280
		.amdhsa_private_segment_fixed_size 0
		.amdhsa_kernarg_size 24
		.amdhsa_user_sgpr_count 2
		.amdhsa_user_sgpr_dispatch_ptr 0
		.amdhsa_user_sgpr_queue_ptr 0
		.amdhsa_user_sgpr_kernarg_segment_ptr 1
		.amdhsa_user_sgpr_dispatch_id 0
		.amdhsa_user_sgpr_kernarg_preload_length 0
		.amdhsa_user_sgpr_kernarg_preload_offset 0
		.amdhsa_user_sgpr_private_segment_size 0
		.amdhsa_uses_dynamic_stack 0
		.amdhsa_enable_private_segment 0
		.amdhsa_system_sgpr_workgroup_id_x 1
		.amdhsa_system_sgpr_workgroup_id_y 0
		.amdhsa_system_sgpr_workgroup_id_z 0
		.amdhsa_system_sgpr_workgroup_info 0
		.amdhsa_system_vgpr_workitem_id 0
		.amdhsa_next_free_vgpr 14
		.amdhsa_next_free_sgpr 4
		.amdhsa_accum_offset 16
		.amdhsa_reserve_vcc 0
		.amdhsa_float_round_mode_32 0
		.amdhsa_float_round_mode_16_64 0
		.amdhsa_float_denorm_mode_32 3
		.amdhsa_float_denorm_mode_16_64 3
		.amdhsa_dx10_clamp 1
		.amdhsa_ieee_mode 1
		.amdhsa_fp16_overflow 0
		.amdhsa_tg_split 0
		.amdhsa_exception_fp_ieee_invalid_op 0
		.amdhsa_exception_fp_denorm_src 0
		.amdhsa_exception_fp_ieee_div_zero 0
		.amdhsa_exception_fp_ieee_overflow 0
		.amdhsa_exception_fp_ieee_underflow 0
		.amdhsa_exception_fp_ieee_inexact 0
		.amdhsa_exception_int_div_zero 0
	.end_amdhsa_kernel
	.section	.text._Z28warp_exchange_scatter_kernelILj5ELj32EitEvPT1_S1_PT2_,"axG",@progbits,_Z28warp_exchange_scatter_kernelILj5ELj32EitEvPT1_S1_PT2_,comdat
.Lfunc_end56:
	.size	_Z28warp_exchange_scatter_kernelILj5ELj32EitEvPT1_S1_PT2_, .Lfunc_end56-_Z28warp_exchange_scatter_kernelILj5ELj32EitEvPT1_S1_PT2_
                                        ; -- End function
	.section	.AMDGPU.csdata,"",@progbits
; Kernel info:
; codeLenInByte = 300
; NumSgprs: 10
; NumVgprs: 14
; NumAgprs: 0
; TotalNumVgprs: 14
; ScratchSize: 0
; MemoryBound: 0
; FloatMode: 240
; IeeeMode: 1
; LDSByteSize: 1280 bytes/workgroup (compile time only)
; SGPRBlocks: 1
; VGPRBlocks: 1
; NumSGPRsForWavesPerEU: 10
; NumVGPRsForWavesPerEU: 14
; AccumOffset: 16
; Occupancy: 8
; WaveLimiterHint : 0
; COMPUTE_PGM_RSRC2:SCRATCH_EN: 0
; COMPUTE_PGM_RSRC2:USER_SGPR: 2
; COMPUTE_PGM_RSRC2:TRAP_HANDLER: 0
; COMPUTE_PGM_RSRC2:TGID_X_EN: 1
; COMPUTE_PGM_RSRC2:TGID_Y_EN: 0
; COMPUTE_PGM_RSRC2:TGID_Z_EN: 0
; COMPUTE_PGM_RSRC2:TIDIG_COMP_CNT: 0
; COMPUTE_PGM_RSRC3_GFX90A:ACCUM_OFFSET: 3
; COMPUTE_PGM_RSRC3_GFX90A:TG_SPLIT: 0
	.section	.text._Z28warp_exchange_scatter_kernelILj4ELj32EltEvPT1_S1_PT2_,"axG",@progbits,_Z28warp_exchange_scatter_kernelILj4ELj32EltEvPT1_S1_PT2_,comdat
	.protected	_Z28warp_exchange_scatter_kernelILj4ELj32EltEvPT1_S1_PT2_ ; -- Begin function _Z28warp_exchange_scatter_kernelILj4ELj32EltEvPT1_S1_PT2_
	.globl	_Z28warp_exchange_scatter_kernelILj4ELj32EltEvPT1_S1_PT2_
	.p2align	8
	.type	_Z28warp_exchange_scatter_kernelILj4ELj32EltEvPT1_S1_PT2_,@function
_Z28warp_exchange_scatter_kernelILj4ELj32EltEvPT1_S1_PT2_: ; @_Z28warp_exchange_scatter_kernelILj4ELj32EltEvPT1_S1_PT2_
; %bb.0:
	s_load_dwordx2 s[2:3], s[0:1], 0x10
	v_lshlrev_b32_e32 v1, 3, v0
	v_lshlrev_b32_e32 v10, 5, v0
	v_mbcnt_lo_u32_b32 v11, -1, 0
	v_mbcnt_hi_u32_b32 v11, -1, v11
	s_waitcnt lgkmcnt(0)
	global_load_dwordx2 v[8:9], v1, s[2:3]
	s_load_dwordx4 s[0:3], s[0:1], 0x0
	v_and_b32_e32 v12, 0x7c00, v10
	v_and_b32_e32 v11, 31, v11
	v_lshl_or_b32 v11, v11, 3, v12
	s_waitcnt lgkmcnt(0)
	global_load_dwordx4 v[0:3], v10, s[0:1]
	global_load_dwordx4 v[4:7], v10, s[0:1] offset:16
	s_waitcnt vmcnt(2)
	v_and_b32_e32 v13, 0xffff, v8
	v_bfe_u32 v8, v8, 16, 16
	v_and_b32_e32 v14, 0xffff, v9
	v_bfe_u32 v9, v9, 16, 16
	v_lshl_add_u32 v13, v13, 3, v12
	v_lshl_add_u32 v8, v8, 3, v12
	;; [unrolled: 1-line block ×4, first 2 shown]
	s_waitcnt vmcnt(1)
	ds_write_b64 v13, v[0:1]
	ds_write_b64 v8, v[2:3]
	s_waitcnt vmcnt(0)
	ds_write_b64 v14, v[4:5]
	ds_write_b64 v9, v[6:7]
	; wave barrier
	ds_read2_b64 v[0:3], v11 offset1:32
	ds_read2_b64 v[4:7], v11 offset0:64 offset1:96
	s_waitcnt lgkmcnt(1)
	global_store_dwordx4 v10, v[0:3], s[2:3]
	s_waitcnt lgkmcnt(0)
	global_store_dwordx4 v10, v[4:7], s[2:3] offset:16
	s_endpgm
	.section	.rodata,"a",@progbits
	.p2align	6, 0x0
	.amdhsa_kernel _Z28warp_exchange_scatter_kernelILj4ELj32EltEvPT1_S1_PT2_
		.amdhsa_group_segment_fixed_size 2048
		.amdhsa_private_segment_fixed_size 0
		.amdhsa_kernarg_size 24
		.amdhsa_user_sgpr_count 2
		.amdhsa_user_sgpr_dispatch_ptr 0
		.amdhsa_user_sgpr_queue_ptr 0
		.amdhsa_user_sgpr_kernarg_segment_ptr 1
		.amdhsa_user_sgpr_dispatch_id 0
		.amdhsa_user_sgpr_kernarg_preload_length 0
		.amdhsa_user_sgpr_kernarg_preload_offset 0
		.amdhsa_user_sgpr_private_segment_size 0
		.amdhsa_uses_dynamic_stack 0
		.amdhsa_enable_private_segment 0
		.amdhsa_system_sgpr_workgroup_id_x 1
		.amdhsa_system_sgpr_workgroup_id_y 0
		.amdhsa_system_sgpr_workgroup_id_z 0
		.amdhsa_system_sgpr_workgroup_info 0
		.amdhsa_system_vgpr_workitem_id 0
		.amdhsa_next_free_vgpr 15
		.amdhsa_next_free_sgpr 4
		.amdhsa_accum_offset 16
		.amdhsa_reserve_vcc 0
		.amdhsa_float_round_mode_32 0
		.amdhsa_float_round_mode_16_64 0
		.amdhsa_float_denorm_mode_32 3
		.amdhsa_float_denorm_mode_16_64 3
		.amdhsa_dx10_clamp 1
		.amdhsa_ieee_mode 1
		.amdhsa_fp16_overflow 0
		.amdhsa_tg_split 0
		.amdhsa_exception_fp_ieee_invalid_op 0
		.amdhsa_exception_fp_denorm_src 0
		.amdhsa_exception_fp_ieee_div_zero 0
		.amdhsa_exception_fp_ieee_overflow 0
		.amdhsa_exception_fp_ieee_underflow 0
		.amdhsa_exception_fp_ieee_inexact 0
		.amdhsa_exception_int_div_zero 0
	.end_amdhsa_kernel
	.section	.text._Z28warp_exchange_scatter_kernelILj4ELj32EltEvPT1_S1_PT2_,"axG",@progbits,_Z28warp_exchange_scatter_kernelILj4ELj32EltEvPT1_S1_PT2_,comdat
.Lfunc_end57:
	.size	_Z28warp_exchange_scatter_kernelILj4ELj32EltEvPT1_S1_PT2_, .Lfunc_end57-_Z28warp_exchange_scatter_kernelILj4ELj32EltEvPT1_S1_PT2_
                                        ; -- End function
	.section	.AMDGPU.csdata,"",@progbits
; Kernel info:
; codeLenInByte = 244
; NumSgprs: 10
; NumVgprs: 15
; NumAgprs: 0
; TotalNumVgprs: 15
; ScratchSize: 0
; MemoryBound: 1
; FloatMode: 240
; IeeeMode: 1
; LDSByteSize: 2048 bytes/workgroup (compile time only)
; SGPRBlocks: 1
; VGPRBlocks: 1
; NumSGPRsForWavesPerEU: 10
; NumVGPRsForWavesPerEU: 15
; AccumOffset: 16
; Occupancy: 8
; WaveLimiterHint : 1
; COMPUTE_PGM_RSRC2:SCRATCH_EN: 0
; COMPUTE_PGM_RSRC2:USER_SGPR: 2
; COMPUTE_PGM_RSRC2:TRAP_HANDLER: 0
; COMPUTE_PGM_RSRC2:TGID_X_EN: 1
; COMPUTE_PGM_RSRC2:TGID_Y_EN: 0
; COMPUTE_PGM_RSRC2:TGID_Z_EN: 0
; COMPUTE_PGM_RSRC2:TIDIG_COMP_CNT: 0
; COMPUTE_PGM_RSRC3_GFX90A:ACCUM_OFFSET: 3
; COMPUTE_PGM_RSRC3_GFX90A:TG_SPLIT: 0
	.section	.text._Z28warp_exchange_scatter_kernelILj2ELj32EitEvPT1_S1_PT2_,"axG",@progbits,_Z28warp_exchange_scatter_kernelILj2ELj32EitEvPT1_S1_PT2_,comdat
	.protected	_Z28warp_exchange_scatter_kernelILj2ELj32EitEvPT1_S1_PT2_ ; -- Begin function _Z28warp_exchange_scatter_kernelILj2ELj32EitEvPT1_S1_PT2_
	.globl	_Z28warp_exchange_scatter_kernelILj2ELj32EitEvPT1_S1_PT2_
	.p2align	8
	.type	_Z28warp_exchange_scatter_kernelILj2ELj32EitEvPT1_S1_PT2_,@function
_Z28warp_exchange_scatter_kernelILj2ELj32EitEvPT1_S1_PT2_: ; @_Z28warp_exchange_scatter_kernelILj2ELj32EitEvPT1_S1_PT2_
; %bb.0:
	s_load_dwordx2 s[2:3], s[0:1], 0x10
	s_load_dwordx4 s[4:7], s[0:1], 0x0
	v_lshlrev_b32_e32 v1, 2, v0
	v_lshlrev_b32_e32 v3, 3, v0
	v_mbcnt_lo_u32_b32 v4, -1, 0
	s_waitcnt lgkmcnt(0)
	global_load_dword v2, v1, s[2:3]
	v_mbcnt_hi_u32_b32 v4, -1, v4
	global_load_dwordx2 v[0:1], v3, s[4:5]
	v_and_b32_e32 v5, 0x1f00, v3
	v_and_b32_e32 v4, 31, v4
	v_lshl_or_b32 v4, v4, 2, v5
	s_waitcnt vmcnt(1)
	v_and_b32_e32 v6, 0xffff, v2
	v_bfe_u32 v2, v2, 16, 16
	v_lshl_add_u32 v6, v6, 2, v5
	v_lshl_add_u32 v2, v2, 2, v5
	s_waitcnt vmcnt(0)
	ds_write_b32 v6, v0
	ds_write_b32 v2, v1
	; wave barrier
	ds_read2_b32 v[0:1], v4 offset1:32
	s_waitcnt lgkmcnt(0)
	global_store_dwordx2 v3, v[0:1], s[6:7]
	s_endpgm
	.section	.rodata,"a",@progbits
	.p2align	6, 0x0
	.amdhsa_kernel _Z28warp_exchange_scatter_kernelILj2ELj32EitEvPT1_S1_PT2_
		.amdhsa_group_segment_fixed_size 512
		.amdhsa_private_segment_fixed_size 0
		.amdhsa_kernarg_size 24
		.amdhsa_user_sgpr_count 2
		.amdhsa_user_sgpr_dispatch_ptr 0
		.amdhsa_user_sgpr_queue_ptr 0
		.amdhsa_user_sgpr_kernarg_segment_ptr 1
		.amdhsa_user_sgpr_dispatch_id 0
		.amdhsa_user_sgpr_kernarg_preload_length 0
		.amdhsa_user_sgpr_kernarg_preload_offset 0
		.amdhsa_user_sgpr_private_segment_size 0
		.amdhsa_uses_dynamic_stack 0
		.amdhsa_enable_private_segment 0
		.amdhsa_system_sgpr_workgroup_id_x 1
		.amdhsa_system_sgpr_workgroup_id_y 0
		.amdhsa_system_sgpr_workgroup_id_z 0
		.amdhsa_system_sgpr_workgroup_info 0
		.amdhsa_system_vgpr_workitem_id 0
		.amdhsa_next_free_vgpr 7
		.amdhsa_next_free_sgpr 8
		.amdhsa_accum_offset 8
		.amdhsa_reserve_vcc 0
		.amdhsa_float_round_mode_32 0
		.amdhsa_float_round_mode_16_64 0
		.amdhsa_float_denorm_mode_32 3
		.amdhsa_float_denorm_mode_16_64 3
		.amdhsa_dx10_clamp 1
		.amdhsa_ieee_mode 1
		.amdhsa_fp16_overflow 0
		.amdhsa_tg_split 0
		.amdhsa_exception_fp_ieee_invalid_op 0
		.amdhsa_exception_fp_denorm_src 0
		.amdhsa_exception_fp_ieee_div_zero 0
		.amdhsa_exception_fp_ieee_overflow 0
		.amdhsa_exception_fp_ieee_underflow 0
		.amdhsa_exception_fp_ieee_inexact 0
		.amdhsa_exception_int_div_zero 0
	.end_amdhsa_kernel
	.section	.text._Z28warp_exchange_scatter_kernelILj2ELj32EitEvPT1_S1_PT2_,"axG",@progbits,_Z28warp_exchange_scatter_kernelILj2ELj32EitEvPT1_S1_PT2_,comdat
.Lfunc_end58:
	.size	_Z28warp_exchange_scatter_kernelILj2ELj32EitEvPT1_S1_PT2_, .Lfunc_end58-_Z28warp_exchange_scatter_kernelILj2ELj32EitEvPT1_S1_PT2_
                                        ; -- End function
	.section	.AMDGPU.csdata,"",@progbits
; Kernel info:
; codeLenInByte = 160
; NumSgprs: 14
; NumVgprs: 7
; NumAgprs: 0
; TotalNumVgprs: 7
; ScratchSize: 0
; MemoryBound: 0
; FloatMode: 240
; IeeeMode: 1
; LDSByteSize: 512 bytes/workgroup (compile time only)
; SGPRBlocks: 1
; VGPRBlocks: 0
; NumSGPRsForWavesPerEU: 14
; NumVGPRsForWavesPerEU: 7
; AccumOffset: 8
; Occupancy: 8
; WaveLimiterHint : 0
; COMPUTE_PGM_RSRC2:SCRATCH_EN: 0
; COMPUTE_PGM_RSRC2:USER_SGPR: 2
; COMPUTE_PGM_RSRC2:TRAP_HANDLER: 0
; COMPUTE_PGM_RSRC2:TGID_X_EN: 1
; COMPUTE_PGM_RSRC2:TGID_Y_EN: 0
; COMPUTE_PGM_RSRC2:TGID_Z_EN: 0
; COMPUTE_PGM_RSRC2:TIDIG_COMP_CNT: 0
; COMPUTE_PGM_RSRC3_GFX90A:ACCUM_OFFSET: 1
; COMPUTE_PGM_RSRC3_GFX90A:TG_SPLIT: 0
	.section	.text._Z28warp_exchange_scatter_kernelILj4ELj16EstEvPT1_S1_PT2_,"axG",@progbits,_Z28warp_exchange_scatter_kernelILj4ELj16EstEvPT1_S1_PT2_,comdat
	.protected	_Z28warp_exchange_scatter_kernelILj4ELj16EstEvPT1_S1_PT2_ ; -- Begin function _Z28warp_exchange_scatter_kernelILj4ELj16EstEvPT1_S1_PT2_
	.globl	_Z28warp_exchange_scatter_kernelILj4ELj16EstEvPT1_S1_PT2_
	.p2align	8
	.type	_Z28warp_exchange_scatter_kernelILj4ELj16EstEvPT1_S1_PT2_,@function
_Z28warp_exchange_scatter_kernelILj4ELj16EstEvPT1_S1_PT2_: ; @_Z28warp_exchange_scatter_kernelILj4ELj16EstEvPT1_S1_PT2_
; %bb.0:
	s_load_dwordx2 s[2:3], s[0:1], 0x10
	v_lshlrev_b32_e32 v4, 3, v0
	v_mbcnt_lo_u32_b32 v5, -1, 0
	v_mbcnt_hi_u32_b32 v5, -1, v5
	v_and_b32_e32 v6, 0x1f80, v4
	s_waitcnt lgkmcnt(0)
	global_load_dwordx2 v[0:1], v4, s[2:3]
	s_load_dwordx4 s[0:3], s[0:1], 0x0
	v_and_b32_e32 v5, 15, v5
	v_lshl_or_b32 v5, v5, 1, v6
	s_waitcnt lgkmcnt(0)
	global_load_dwordx2 v[2:3], v4, s[0:1]
	s_mov_b32 s0, 0x5040100
	s_waitcnt vmcnt(1)
	v_and_b32_e32 v7, 0xffff, v0
	v_bfe_u32 v0, v0, 16, 16
	v_and_b32_e32 v8, 0xffff, v1
	v_bfe_u32 v1, v1, 16, 16
	v_lshl_add_u32 v7, v7, 1, v6
	v_lshl_add_u32 v0, v0, 1, v6
	v_lshl_add_u32 v1, v1, 1, v6
	v_lshl_add_u32 v8, v8, 1, v6
	s_waitcnt vmcnt(0)
	ds_write_b16 v7, v2
	ds_write_b16_d16_hi v0, v2
	ds_write_b16 v8, v3
	ds_write_b16_d16_hi v1, v3
	; wave barrier
	ds_read_u16 v0, v5 offset:64
	ds_read_u16 v1, v5 offset:96
	ds_read_u16 v2, v5
	ds_read_u16 v3, v5 offset:32
	s_waitcnt lgkmcnt(2)
	v_perm_b32 v1, v1, v0, s0
	s_waitcnt lgkmcnt(0)
	v_perm_b32 v0, v3, v2, s0
	global_store_dwordx2 v4, v[0:1], s[2:3]
	s_endpgm
	.section	.rodata,"a",@progbits
	.p2align	6, 0x0
	.amdhsa_kernel _Z28warp_exchange_scatter_kernelILj4ELj16EstEvPT1_S1_PT2_
		.amdhsa_group_segment_fixed_size 512
		.amdhsa_private_segment_fixed_size 0
		.amdhsa_kernarg_size 24
		.amdhsa_user_sgpr_count 2
		.amdhsa_user_sgpr_dispatch_ptr 0
		.amdhsa_user_sgpr_queue_ptr 0
		.amdhsa_user_sgpr_kernarg_segment_ptr 1
		.amdhsa_user_sgpr_dispatch_id 0
		.amdhsa_user_sgpr_kernarg_preload_length 0
		.amdhsa_user_sgpr_kernarg_preload_offset 0
		.amdhsa_user_sgpr_private_segment_size 0
		.amdhsa_uses_dynamic_stack 0
		.amdhsa_enable_private_segment 0
		.amdhsa_system_sgpr_workgroup_id_x 1
		.amdhsa_system_sgpr_workgroup_id_y 0
		.amdhsa_system_sgpr_workgroup_id_z 0
		.amdhsa_system_sgpr_workgroup_info 0
		.amdhsa_system_vgpr_workitem_id 0
		.amdhsa_next_free_vgpr 9
		.amdhsa_next_free_sgpr 4
		.amdhsa_accum_offset 12
		.amdhsa_reserve_vcc 0
		.amdhsa_float_round_mode_32 0
		.amdhsa_float_round_mode_16_64 0
		.amdhsa_float_denorm_mode_32 3
		.amdhsa_float_denorm_mode_16_64 3
		.amdhsa_dx10_clamp 1
		.amdhsa_ieee_mode 1
		.amdhsa_fp16_overflow 0
		.amdhsa_tg_split 0
		.amdhsa_exception_fp_ieee_invalid_op 0
		.amdhsa_exception_fp_denorm_src 0
		.amdhsa_exception_fp_ieee_div_zero 0
		.amdhsa_exception_fp_ieee_overflow 0
		.amdhsa_exception_fp_ieee_underflow 0
		.amdhsa_exception_fp_ieee_inexact 0
		.amdhsa_exception_int_div_zero 0
	.end_amdhsa_kernel
	.section	.text._Z28warp_exchange_scatter_kernelILj4ELj16EstEvPT1_S1_PT2_,"axG",@progbits,_Z28warp_exchange_scatter_kernelILj4ELj16EstEvPT1_S1_PT2_,comdat
.Lfunc_end59:
	.size	_Z28warp_exchange_scatter_kernelILj4ELj16EstEvPT1_S1_PT2_, .Lfunc_end59-_Z28warp_exchange_scatter_kernelILj4ELj16EstEvPT1_S1_PT2_
                                        ; -- End function
	.section	.AMDGPU.csdata,"",@progbits
; Kernel info:
; codeLenInByte = 260
; NumSgprs: 10
; NumVgprs: 9
; NumAgprs: 0
; TotalNumVgprs: 9
; ScratchSize: 0
; MemoryBound: 0
; FloatMode: 240
; IeeeMode: 1
; LDSByteSize: 512 bytes/workgroup (compile time only)
; SGPRBlocks: 1
; VGPRBlocks: 1
; NumSGPRsForWavesPerEU: 10
; NumVGPRsForWavesPerEU: 9
; AccumOffset: 12
; Occupancy: 8
; WaveLimiterHint : 0
; COMPUTE_PGM_RSRC2:SCRATCH_EN: 0
; COMPUTE_PGM_RSRC2:USER_SGPR: 2
; COMPUTE_PGM_RSRC2:TRAP_HANDLER: 0
; COMPUTE_PGM_RSRC2:TGID_X_EN: 1
; COMPUTE_PGM_RSRC2:TGID_Y_EN: 0
; COMPUTE_PGM_RSRC2:TGID_Z_EN: 0
; COMPUTE_PGM_RSRC2:TIDIG_COMP_CNT: 0
; COMPUTE_PGM_RSRC3_GFX90A:ACCUM_OFFSET: 2
; COMPUTE_PGM_RSRC3_GFX90A:TG_SPLIT: 0
	.section	.text._Z28warp_exchange_scatter_kernelILj4ELj8EitEvPT1_S1_PT2_,"axG",@progbits,_Z28warp_exchange_scatter_kernelILj4ELj8EitEvPT1_S1_PT2_,comdat
	.protected	_Z28warp_exchange_scatter_kernelILj4ELj8EitEvPT1_S1_PT2_ ; -- Begin function _Z28warp_exchange_scatter_kernelILj4ELj8EitEvPT1_S1_PT2_
	.globl	_Z28warp_exchange_scatter_kernelILj4ELj8EitEvPT1_S1_PT2_
	.p2align	8
	.type	_Z28warp_exchange_scatter_kernelILj4ELj8EitEvPT1_S1_PT2_,@function
_Z28warp_exchange_scatter_kernelILj4ELj8EitEvPT1_S1_PT2_: ; @_Z28warp_exchange_scatter_kernelILj4ELj8EitEvPT1_S1_PT2_
; %bb.0:
	s_load_dwordx2 s[2:3], s[0:1], 0x10
	v_lshlrev_b32_e32 v1, 3, v0
	v_lshlrev_b32_e32 v6, 4, v0
	v_mbcnt_lo_u32_b32 v7, -1, 0
	v_mbcnt_hi_u32_b32 v7, -1, v7
	s_waitcnt lgkmcnt(0)
	global_load_dwordx2 v[4:5], v1, s[2:3]
	s_load_dwordx4 s[0:3], s[0:1], 0x0
	v_and_b32_e32 v8, 0x3f80, v6
	v_and_b32_e32 v7, 7, v7
	v_lshl_or_b32 v7, v7, 2, v8
	s_waitcnt lgkmcnt(0)
	global_load_dwordx4 v[0:3], v6, s[0:1]
	s_waitcnt vmcnt(1)
	v_and_b32_e32 v9, 0xffff, v4
	v_bfe_u32 v4, v4, 16, 16
	v_and_b32_e32 v10, 0xffff, v5
	v_bfe_u32 v5, v5, 16, 16
	v_lshl_add_u32 v9, v9, 2, v8
	v_lshl_add_u32 v4, v4, 2, v8
	;; [unrolled: 1-line block ×4, first 2 shown]
	s_waitcnt vmcnt(0)
	ds_write_b32 v9, v0
	ds_write_b32 v4, v1
	ds_write_b32 v10, v2
	ds_write_b32 v5, v3
	; wave barrier
	ds_read2_b32 v[0:1], v7 offset1:8
	ds_read2_b32 v[2:3], v7 offset0:16 offset1:24
	s_waitcnt lgkmcnt(0)
	global_store_dwordx4 v6, v[0:3], s[2:3]
	s_endpgm
	.section	.rodata,"a",@progbits
	.p2align	6, 0x0
	.amdhsa_kernel _Z28warp_exchange_scatter_kernelILj4ELj8EitEvPT1_S1_PT2_
		.amdhsa_group_segment_fixed_size 1024
		.amdhsa_private_segment_fixed_size 0
		.amdhsa_kernarg_size 24
		.amdhsa_user_sgpr_count 2
		.amdhsa_user_sgpr_dispatch_ptr 0
		.amdhsa_user_sgpr_queue_ptr 0
		.amdhsa_user_sgpr_kernarg_segment_ptr 1
		.amdhsa_user_sgpr_dispatch_id 0
		.amdhsa_user_sgpr_kernarg_preload_length 0
		.amdhsa_user_sgpr_kernarg_preload_offset 0
		.amdhsa_user_sgpr_private_segment_size 0
		.amdhsa_uses_dynamic_stack 0
		.amdhsa_enable_private_segment 0
		.amdhsa_system_sgpr_workgroup_id_x 1
		.amdhsa_system_sgpr_workgroup_id_y 0
		.amdhsa_system_sgpr_workgroup_id_z 0
		.amdhsa_system_sgpr_workgroup_info 0
		.amdhsa_system_vgpr_workitem_id 0
		.amdhsa_next_free_vgpr 11
		.amdhsa_next_free_sgpr 4
		.amdhsa_accum_offset 12
		.amdhsa_reserve_vcc 0
		.amdhsa_float_round_mode_32 0
		.amdhsa_float_round_mode_16_64 0
		.amdhsa_float_denorm_mode_32 3
		.amdhsa_float_denorm_mode_16_64 3
		.amdhsa_dx10_clamp 1
		.amdhsa_ieee_mode 1
		.amdhsa_fp16_overflow 0
		.amdhsa_tg_split 0
		.amdhsa_exception_fp_ieee_invalid_op 0
		.amdhsa_exception_fp_denorm_src 0
		.amdhsa_exception_fp_ieee_div_zero 0
		.amdhsa_exception_fp_ieee_overflow 0
		.amdhsa_exception_fp_ieee_underflow 0
		.amdhsa_exception_fp_ieee_inexact 0
		.amdhsa_exception_int_div_zero 0
	.end_amdhsa_kernel
	.section	.text._Z28warp_exchange_scatter_kernelILj4ELj8EitEvPT1_S1_PT2_,"axG",@progbits,_Z28warp_exchange_scatter_kernelILj4ELj8EitEvPT1_S1_PT2_,comdat
.Lfunc_end60:
	.size	_Z28warp_exchange_scatter_kernelILj4ELj8EitEvPT1_S1_PT2_, .Lfunc_end60-_Z28warp_exchange_scatter_kernelILj4ELj8EitEvPT1_S1_PT2_
                                        ; -- End function
	.section	.AMDGPU.csdata,"",@progbits
; Kernel info:
; codeLenInByte = 220
; NumSgprs: 10
; NumVgprs: 11
; NumAgprs: 0
; TotalNumVgprs: 11
; ScratchSize: 0
; MemoryBound: 0
; FloatMode: 240
; IeeeMode: 1
; LDSByteSize: 1024 bytes/workgroup (compile time only)
; SGPRBlocks: 1
; VGPRBlocks: 1
; NumSGPRsForWavesPerEU: 10
; NumVGPRsForWavesPerEU: 11
; AccumOffset: 12
; Occupancy: 8
; WaveLimiterHint : 0
; COMPUTE_PGM_RSRC2:SCRATCH_EN: 0
; COMPUTE_PGM_RSRC2:USER_SGPR: 2
; COMPUTE_PGM_RSRC2:TRAP_HANDLER: 0
; COMPUTE_PGM_RSRC2:TGID_X_EN: 1
; COMPUTE_PGM_RSRC2:TGID_Y_EN: 0
; COMPUTE_PGM_RSRC2:TGID_Z_EN: 0
; COMPUTE_PGM_RSRC2:TIDIG_COMP_CNT: 0
; COMPUTE_PGM_RSRC3_GFX90A:ACCUM_OFFSET: 2
; COMPUTE_PGM_RSRC3_GFX90A:TG_SPLIT: 0
	.text
	.p2alignl 6, 3212836864
	.fill 256, 4, 3212836864
	.type	__hip_cuid_72cd448a9c75905d,@object ; @__hip_cuid_72cd448a9c75905d
	.section	.bss,"aw",@nobits
	.globl	__hip_cuid_72cd448a9c75905d
__hip_cuid_72cd448a9c75905d:
	.byte	0                               ; 0x0
	.size	__hip_cuid_72cd448a9c75905d, 1

	.ident	"AMD clang version 19.0.0git (https://github.com/RadeonOpenCompute/llvm-project roc-6.4.0 25133 c7fe45cf4b819c5991fe208aaa96edf142730f1d)"
	.section	".note.GNU-stack","",@progbits
	.addrsig
	.addrsig_sym __hip_cuid_72cd448a9c75905d
	.amdgpu_metadata
---
amdhsa.kernels:
  - .agpr_count:     0
    .args:
      - .address_space:  global
        .offset:         0
        .size:           8
        .value_kind:     global_buffer
      - .address_space:  global
        .offset:         8
        .size:           8
        .value_kind:     global_buffer
      - .offset:         16
        .size:           1
        .value_kind:     by_value
    .group_segment_fixed_size: 0
    .kernarg_segment_align: 8
    .kernarg_segment_size: 20
    .language:       OpenCL C
    .language_version:
      - 2
      - 0
    .max_flat_workgroup_size: 1024
    .name:           _Z20warp_exchange_kernelILj64ELj16EN6common25StripedToBlockedShuffleOpE12hip_bfloat16EvPT2_S4_b
    .private_segment_fixed_size: 272
    .sgpr_count:     14
    .sgpr_spill_count: 0
    .symbol:         _Z20warp_exchange_kernelILj64ELj16EN6common25StripedToBlockedShuffleOpE12hip_bfloat16EvPT2_S4_b.kd
    .uniform_work_group_size: 1
    .uses_dynamic_stack: false
    .vgpr_count:     128
    .vgpr_spill_count: 1
    .wavefront_size: 64
  - .agpr_count:     0
    .args:
      - .address_space:  global
        .offset:         0
        .size:           8
        .value_kind:     global_buffer
      - .address_space:  global
        .offset:         8
        .size:           8
        .value_kind:     global_buffer
      - .offset:         16
        .size:           1
        .value_kind:     by_value
    .group_segment_fixed_size: 0
    .kernarg_segment_align: 8
    .kernarg_segment_size: 20
    .language:       OpenCL C
    .language_version:
      - 2
      - 0
    .max_flat_workgroup_size: 1024
    .name:           _Z20warp_exchange_kernelILj64ELj8EN6common25StripedToBlockedShuffleOpElEvPT2_S3_b
    .private_segment_fixed_size: 1648
    .sgpr_count:     14
    .sgpr_spill_count: 0
    .symbol:         _Z20warp_exchange_kernelILj64ELj8EN6common25StripedToBlockedShuffleOpElEvPT2_S3_b.kd
    .uniform_work_group_size: 1
    .uses_dynamic_stack: false
    .vgpr_count:     128
    .vgpr_spill_count: 210
    .wavefront_size: 64
  - .agpr_count:     0
    .args:
      - .address_space:  global
        .offset:         0
        .size:           8
        .value_kind:     global_buffer
      - .address_space:  global
        .offset:         8
        .size:           8
        .value_kind:     global_buffer
      - .offset:         16
        .size:           1
        .value_kind:     by_value
    .group_segment_fixed_size: 0
    .kernarg_segment_align: 8
    .kernarg_segment_size: 20
    .language:       OpenCL C
    .language_version:
      - 2
      - 0
    .max_flat_workgroup_size: 1024
    .name:           _Z20warp_exchange_kernelILj32ELj8EN6common25StripedToBlockedShuffleOpEiEvPT2_S3_b
    .private_segment_fixed_size: 272
    .sgpr_count:     14
    .sgpr_spill_count: 0
    .symbol:         _Z20warp_exchange_kernelILj32ELj8EN6common25StripedToBlockedShuffleOpEiEvPT2_S3_b.kd
    .uniform_work_group_size: 1
    .uses_dynamic_stack: false
    .vgpr_count:     77
    .vgpr_spill_count: 0
    .wavefront_size: 64
  - .agpr_count:     0
    .args:
      - .address_space:  global
        .offset:         0
        .size:           8
        .value_kind:     global_buffer
      - .address_space:  global
        .offset:         8
        .size:           8
        .value_kind:     global_buffer
      - .offset:         16
        .size:           1
        .value_kind:     by_value
    .group_segment_fixed_size: 0
    .kernarg_segment_align: 8
    .kernarg_segment_size: 20
    .language:       OpenCL C
    .language_version:
      - 2
      - 0
    .max_flat_workgroup_size: 1024
    .name:           _Z20warp_exchange_kernelILj32ELj64EN6common25StripedToBlockedShuffleOpEaEvPT2_S3_b
    .private_segment_fixed_size: 0
    .sgpr_count:     74
    .sgpr_spill_count: 0
    .symbol:         _Z20warp_exchange_kernelILj32ELj64EN6common25StripedToBlockedShuffleOpEaEvPT2_S3_b.kd
    .uniform_work_group_size: 1
    .uses_dynamic_stack: false
    .vgpr_count:     79
    .vgpr_spill_count: 0
    .wavefront_size: 64
  - .agpr_count:     0
    .args:
      - .address_space:  global
        .offset:         0
        .size:           8
        .value_kind:     global_buffer
      - .address_space:  global
        .offset:         8
        .size:           8
        .value_kind:     global_buffer
      - .offset:         16
        .size:           1
        .value_kind:     by_value
    .group_segment_fixed_size: 0
    .kernarg_segment_align: 8
    .kernarg_segment_size: 20
    .language:       OpenCL C
    .language_version:
      - 2
      - 0
    .max_flat_workgroup_size: 1024
    .name:           _Z20warp_exchange_kernelILj8ELj32EN6common25StripedToBlockedShuffleOpEdEvPT2_S3_b
    .private_segment_fixed_size: 144
    .sgpr_count:     14
    .sgpr_spill_count: 0
    .symbol:         _Z20warp_exchange_kernelILj8ELj32EN6common25StripedToBlockedShuffleOpEdEvPT2_S3_b.kd
    .uniform_work_group_size: 1
    .uses_dynamic_stack: false
    .vgpr_count:     56
    .vgpr_spill_count: 0
    .wavefront_size: 64
  - .agpr_count:     0
    .args:
      - .address_space:  global
        .offset:         0
        .size:           8
        .value_kind:     global_buffer
      - .address_space:  global
        .offset:         8
        .size:           8
        .value_kind:     global_buffer
      - .offset:         16
        .size:           1
        .value_kind:     by_value
    .group_segment_fixed_size: 0
    .kernarg_segment_align: 8
    .kernarg_segment_size: 20
    .language:       OpenCL C
    .language_version:
      - 2
      - 0
    .max_flat_workgroup_size: 1024
    .name:           _Z20warp_exchange_kernelILj16ELj64EN6common25StripedToBlockedShuffleOpEfEvPT2_S3_b
    .private_segment_fixed_size: 0
    .sgpr_count:     106
    .sgpr_spill_count: 0
    .symbol:         _Z20warp_exchange_kernelILj16ELj64EN6common25StripedToBlockedShuffleOpEfEvPT2_S3_b.kd
    .uniform_work_group_size: 1
    .uses_dynamic_stack: false
    .vgpr_count:     86
    .vgpr_spill_count: 0
    .wavefront_size: 64
  - .agpr_count:     0
    .args:
      - .address_space:  global
        .offset:         0
        .size:           8
        .value_kind:     global_buffer
      - .address_space:  global
        .offset:         8
        .size:           8
        .value_kind:     global_buffer
      - .offset:         16
        .size:           1
        .value_kind:     by_value
    .group_segment_fixed_size: 32768
    .kernarg_segment_align: 8
    .kernarg_segment_size: 20
    .language:       OpenCL C
    .language_version:
      - 2
      - 0
    .max_flat_workgroup_size: 1024
    .name:           _Z20warp_exchange_kernelILj8ELj8EN6common25StripedToBlockedShuffleOpE12hip_bfloat16EvPT2_S4_b
    .private_segment_fixed_size: 0
    .sgpr_count:     15
    .sgpr_spill_count: 0
    .symbol:         _Z20warp_exchange_kernelILj8ELj8EN6common25StripedToBlockedShuffleOpE12hip_bfloat16EvPT2_S4_b.kd
    .uniform_work_group_size: 1
    .uses_dynamic_stack: false
    .vgpr_count:     20
    .vgpr_spill_count: 0
    .wavefront_size: 64
  - .agpr_count:     0
    .args:
      - .address_space:  global
        .offset:         0
        .size:           8
        .value_kind:     global_buffer
      - .address_space:  global
        .offset:         8
        .size:           8
        .value_kind:     global_buffer
      - .offset:         16
        .size:           1
        .value_kind:     by_value
    .group_segment_fixed_size: 0
    .kernarg_segment_align: 8
    .kernarg_segment_size: 20
    .language:       OpenCL C
    .language_version:
      - 2
      - 0
    .max_flat_workgroup_size: 1024
    .name:           _Z20warp_exchange_kernelILj64ELj64EN6common25StripedToBlockedShuffleOpEdEvPT2_S3_b
    .private_segment_fixed_size: 1056
    .sgpr_count:     14
    .sgpr_spill_count: 0
    .symbol:         _Z20warp_exchange_kernelILj64ELj64EN6common25StripedToBlockedShuffleOpEdEvPT2_S3_b.kd
    .uniform_work_group_size: 1
    .uses_dynamic_stack: false
    .vgpr_count:     128
    .vgpr_spill_count: 141
    .wavefront_size: 64
  - .agpr_count:     0
    .args:
      - .address_space:  global
        .offset:         0
        .size:           8
        .value_kind:     global_buffer
      - .address_space:  global
        .offset:         8
        .size:           8
        .value_kind:     global_buffer
      - .offset:         16
        .size:           1
        .value_kind:     by_value
    .group_segment_fixed_size: 0
    .kernarg_segment_align: 8
    .kernarg_segment_size: 20
    .language:       OpenCL C
    .language_version:
      - 2
      - 0
    .max_flat_workgroup_size: 1024
    .name:           _Z20warp_exchange_kernelILj32ELj32EN6common25StripedToBlockedShuffleOpEfEvPT2_S3_b
    .private_segment_fixed_size: 144
    .sgpr_count:     14
    .sgpr_spill_count: 0
    .symbol:         _Z20warp_exchange_kernelILj32ELj32EN6common25StripedToBlockedShuffleOpEfEvPT2_S3_b.kd
    .uniform_work_group_size: 1
    .uses_dynamic_stack: false
    .vgpr_count:     76
    .vgpr_spill_count: 0
    .wavefront_size: 64
  - .agpr_count:     0
    .args:
      - .address_space:  global
        .offset:         0
        .size:           8
        .value_kind:     global_buffer
      - .address_space:  global
        .offset:         8
        .size:           8
        .value_kind:     global_buffer
      - .offset:         16
        .size:           1
        .value_kind:     by_value
    .group_segment_fixed_size: 0
    .kernarg_segment_align: 8
    .kernarg_segment_size: 20
    .language:       OpenCL C
    .language_version:
      - 2
      - 0
    .max_flat_workgroup_size: 1024
    .name:           _Z20warp_exchange_kernelILj8ELj8EN6common25StripedToBlockedShuffleOpElEvPT2_S3_b
    .private_segment_fixed_size: 80
    .sgpr_count:     14
    .sgpr_spill_count: 0
    .symbol:         _Z20warp_exchange_kernelILj8ELj8EN6common25StripedToBlockedShuffleOpElEvPT2_S3_b.kd
    .uniform_work_group_size: 1
    .uses_dynamic_stack: false
    .vgpr_count:     39
    .vgpr_spill_count: 0
    .wavefront_size: 64
  - .agpr_count:     0
    .args:
      - .address_space:  global
        .offset:         0
        .size:           8
        .value_kind:     global_buffer
      - .address_space:  global
        .offset:         8
        .size:           8
        .value_kind:     global_buffer
      - .offset:         16
        .size:           1
        .value_kind:     by_value
    .group_segment_fixed_size: 0
    .kernarg_segment_align: 8
    .kernarg_segment_size: 20
    .language:       OpenCL C
    .language_version:
      - 2
      - 0
    .max_flat_workgroup_size: 1024
    .name:           _Z20warp_exchange_kernelILj32ELj32EN6common25StripedToBlockedShuffleOpEsEvPT2_S3_b
    .private_segment_fixed_size: 80
    .sgpr_count:     14
    .sgpr_spill_count: 0
    .symbol:         _Z20warp_exchange_kernelILj32ELj32EN6common25StripedToBlockedShuffleOpEsEvPT2_S3_b.kd
    .uniform_work_group_size: 1
    .uses_dynamic_stack: false
    .vgpr_count:     47
    .vgpr_spill_count: 0
    .wavefront_size: 64
  - .agpr_count:     0
    .args:
      - .address_space:  global
        .offset:         0
        .size:           8
        .value_kind:     global_buffer
      - .address_space:  global
        .offset:         8
        .size:           8
        .value_kind:     global_buffer
      - .offset:         16
        .size:           1
        .value_kind:     by_value
    .group_segment_fixed_size: 0
    .kernarg_segment_align: 8
    .kernarg_segment_size: 20
    .language:       OpenCL C
    .language_version:
      - 2
      - 0
    .max_flat_workgroup_size: 1024
    .name:           _Z20warp_exchange_kernelILj16ELj16EN6common25StripedToBlockedShuffleOpEaEvPT2_S3_b
    .private_segment_fixed_size: 0
    .sgpr_count:     106
    .sgpr_spill_count: 166
    .symbol:         _Z20warp_exchange_kernelILj16ELj16EN6common25StripedToBlockedShuffleOpEaEvPT2_S3_b.kd
    .uniform_work_group_size: 1
    .uses_dynamic_stack: false
    .vgpr_count:     44
    .vgpr_spill_count: 0
    .wavefront_size: 64
  - .agpr_count:     0
    .args:
      - .address_space:  global
        .offset:         0
        .size:           8
        .value_kind:     global_buffer
      - .address_space:  global
        .offset:         8
        .size:           8
        .value_kind:     global_buffer
      - .offset:         16
        .size:           1
        .value_kind:     by_value
    .group_segment_fixed_size: 32768
    .kernarg_segment_align: 8
    .kernarg_segment_size: 20
    .language:       OpenCL C
    .language_version:
      - 2
      - 0
    .max_flat_workgroup_size: 1024
    .name:           _Z20warp_exchange_kernelILj8ELj8EN6common25StripedToBlockedShuffleOpEiEvPT2_S3_b
    .private_segment_fixed_size: 48
    .sgpr_count:     15
    .sgpr_spill_count: 0
    .symbol:         _Z20warp_exchange_kernelILj8ELj8EN6common25StripedToBlockedShuffleOpEiEvPT2_S3_b.kd
    .uniform_work_group_size: 1
    .uses_dynamic_stack: false
    .vgpr_count:     24
    .vgpr_spill_count: 0
    .wavefront_size: 64
  - .agpr_count:     0
    .args:
      - .address_space:  global
        .offset:         0
        .size:           8
        .value_kind:     global_buffer
      - .address_space:  global
        .offset:         8
        .size:           8
        .value_kind:     global_buffer
      - .offset:         16
        .size:           1
        .value_kind:     by_value
    .group_segment_fixed_size: 32768
    .kernarg_segment_align: 8
    .kernarg_segment_size: 20
    .language:       OpenCL C
    .language_version:
      - 2
      - 0
    .max_flat_workgroup_size: 1024
    .name:           _Z20warp_exchange_kernelILj4ELj8EN6common25StripedToBlockedShuffleOpE12hip_bfloat16EvPT2_S4_b
    .private_segment_fixed_size: 0
    .sgpr_count:     15
    .sgpr_spill_count: 0
    .symbol:         _Z20warp_exchange_kernelILj4ELj8EN6common25StripedToBlockedShuffleOpE12hip_bfloat16EvPT2_S4_b.kd
    .uniform_work_group_size: 1
    .uses_dynamic_stack: false
    .vgpr_count:     17
    .vgpr_spill_count: 0
    .wavefront_size: 64
  - .agpr_count:     0
    .args:
      - .address_space:  global
        .offset:         0
        .size:           8
        .value_kind:     global_buffer
      - .address_space:  global
        .offset:         8
        .size:           8
        .value_kind:     global_buffer
      - .offset:         16
        .size:           1
        .value_kind:     by_value
    .group_segment_fixed_size: 0
    .kernarg_segment_align: 8
    .kernarg_segment_size: 20
    .language:       OpenCL C
    .language_version:
      - 2
      - 0
    .max_flat_workgroup_size: 1024
    .name:           _Z20warp_exchange_kernelILj4ELj64EN6common25StripedToBlockedShuffleOpEdEvPT2_S3_b
    .private_segment_fixed_size: 0
    .sgpr_count:     14
    .sgpr_spill_count: 0
    .symbol:         _Z20warp_exchange_kernelILj4ELj64EN6common25StripedToBlockedShuffleOpEdEvPT2_S3_b.kd
    .uniform_work_group_size: 1
    .uses_dynamic_stack: false
    .vgpr_count:     23
    .vgpr_spill_count: 0
    .wavefront_size: 64
  - .agpr_count:     0
    .args:
      - .address_space:  global
        .offset:         0
        .size:           8
        .value_kind:     global_buffer
      - .address_space:  global
        .offset:         8
        .size:           8
        .value_kind:     global_buffer
      - .offset:         16
        .size:           1
        .value_kind:     by_value
    .group_segment_fixed_size: 0
    .kernarg_segment_align: 8
    .kernarg_segment_size: 20
    .language:       OpenCL C
    .language_version:
      - 2
      - 0
    .max_flat_workgroup_size: 1024
    .name:           _Z20warp_exchange_kernelILj4ELj32EN6common25StripedToBlockedShuffleOpEfEvPT2_S3_b
    .private_segment_fixed_size: 0
    .sgpr_count:     14
    .sgpr_spill_count: 0
    .symbol:         _Z20warp_exchange_kernelILj4ELj32EN6common25StripedToBlockedShuffleOpEfEvPT2_S3_b.kd
    .uniform_work_group_size: 1
    .uses_dynamic_stack: false
    .vgpr_count:     16
    .vgpr_spill_count: 0
    .wavefront_size: 64
  - .agpr_count:     0
    .args:
      - .address_space:  global
        .offset:         0
        .size:           8
        .value_kind:     global_buffer
      - .address_space:  global
        .offset:         8
        .size:           8
        .value_kind:     global_buffer
      - .offset:         16
        .size:           1
        .value_kind:     by_value
    .group_segment_fixed_size: 32768
    .kernarg_segment_align: 8
    .kernarg_segment_size: 20
    .language:       OpenCL C
    .language_version:
      - 2
      - 0
    .max_flat_workgroup_size: 1024
    .name:           _Z20warp_exchange_kernelILj4ELj8EN6common25StripedToBlockedShuffleOpElEvPT2_S3_b
    .private_segment_fixed_size: 80
    .sgpr_count:     15
    .sgpr_spill_count: 0
    .symbol:         _Z20warp_exchange_kernelILj4ELj8EN6common25StripedToBlockedShuffleOpElEvPT2_S3_b.kd
    .uniform_work_group_size: 1
    .uses_dynamic_stack: false
    .vgpr_count:     26
    .vgpr_spill_count: 0
    .wavefront_size: 64
  - .agpr_count:     0
    .args:
      - .address_space:  global
        .offset:         0
        .size:           8
        .value_kind:     global_buffer
      - .address_space:  global
        .offset:         8
        .size:           8
        .value_kind:     global_buffer
      - .offset:         16
        .size:           1
        .value_kind:     by_value
    .group_segment_fixed_size: 0
    .kernarg_segment_align: 8
    .kernarg_segment_size: 20
    .language:       OpenCL C
    .language_version:
      - 2
      - 0
    .max_flat_workgroup_size: 1024
    .name:           _Z20warp_exchange_kernelILj2ELj32EN6common25StripedToBlockedShuffleOpEsEvPT2_S3_b
    .private_segment_fixed_size: 0
    .sgpr_count:     14
    .sgpr_spill_count: 0
    .symbol:         _Z20warp_exchange_kernelILj2ELj32EN6common25StripedToBlockedShuffleOpEsEvPT2_S3_b.kd
    .uniform_work_group_size: 1
    .uses_dynamic_stack: false
    .vgpr_count:     9
    .vgpr_spill_count: 0
    .wavefront_size: 64
  - .agpr_count:     0
    .args:
      - .address_space:  global
        .offset:         0
        .size:           8
        .value_kind:     global_buffer
      - .address_space:  global
        .offset:         8
        .size:           8
        .value_kind:     global_buffer
      - .offset:         16
        .size:           1
        .value_kind:     by_value
    .group_segment_fixed_size: 0
    .kernarg_segment_align: 8
    .kernarg_segment_size: 20
    .language:       OpenCL C
    .language_version:
      - 2
      - 0
    .max_flat_workgroup_size: 1024
    .name:           _Z20warp_exchange_kernelILj4ELj16EN6common25StripedToBlockedShuffleOpEaEvPT2_S3_b
    .private_segment_fixed_size: 0
    .sgpr_count:     14
    .sgpr_spill_count: 0
    .symbol:         _Z20warp_exchange_kernelILj4ELj16EN6common25StripedToBlockedShuffleOpEaEvPT2_S3_b.kd
    .uniform_work_group_size: 1
    .uses_dynamic_stack: false
    .vgpr_count:     20
    .vgpr_spill_count: 0
    .wavefront_size: 64
  - .agpr_count:     0
    .args:
      - .address_space:  global
        .offset:         0
        .size:           8
        .value_kind:     global_buffer
      - .address_space:  global
        .offset:         8
        .size:           8
        .value_kind:     global_buffer
      - .offset:         16
        .size:           1
        .value_kind:     by_value
    .group_segment_fixed_size: 0
    .kernarg_segment_align: 8
    .kernarg_segment_size: 20
    .language:       OpenCL C
    .language_version:
      - 2
      - 0
    .max_flat_workgroup_size: 1024
    .name:           _Z20warp_exchange_kernelILj4ELj8EN6common25StripedToBlockedShuffleOpEiEvPT2_S3_b
    .private_segment_fixed_size: 0
    .sgpr_count:     50
    .sgpr_spill_count: 0
    .symbol:         _Z20warp_exchange_kernelILj4ELj8EN6common25StripedToBlockedShuffleOpEiEvPT2_S3_b.kd
    .uniform_work_group_size: 1
    .uses_dynamic_stack: false
    .vgpr_count:     15
    .vgpr_spill_count: 0
    .wavefront_size: 64
  - .agpr_count:     0
    .args:
      - .address_space:  global
        .offset:         0
        .size:           8
        .value_kind:     global_buffer
      - .address_space:  global
        .offset:         8
        .size:           8
        .value_kind:     global_buffer
      - .offset:         16
        .size:           1
        .value_kind:     by_value
    .group_segment_fixed_size: 1024
    .kernarg_segment_align: 8
    .kernarg_segment_size: 20
    .language:       OpenCL C
    .language_version:
      - 2
      - 0
    .max_flat_workgroup_size: 1024
    .name:           _Z20warp_exchange_kernelILj4ELj8EN6common18StripedToBlockedOpE12hip_bfloat16EvPT2_S4_b
    .private_segment_fixed_size: 0
    .sgpr_count:     14
    .sgpr_spill_count: 0
    .symbol:         _Z20warp_exchange_kernelILj4ELj8EN6common18StripedToBlockedOpE12hip_bfloat16EvPT2_S4_b.kd
    .uniform_work_group_size: 1
    .uses_dynamic_stack: false
    .vgpr_count:     9
    .vgpr_spill_count: 0
    .wavefront_size: 64
  - .agpr_count:     0
    .args:
      - .address_space:  global
        .offset:         0
        .size:           8
        .value_kind:     global_buffer
      - .address_space:  global
        .offset:         8
        .size:           8
        .value_kind:     global_buffer
      - .offset:         16
        .size:           1
        .value_kind:     by_value
    .group_segment_fixed_size: 5120
    .kernarg_segment_align: 8
    .kernarg_segment_size: 20
    .language:       OpenCL C
    .language_version:
      - 2
      - 0
    .max_flat_workgroup_size: 1024
    .name:           _Z20warp_exchange_kernelILj5ELj32EN6common18StripedToBlockedOpEdEvPT2_S3_b
    .private_segment_fixed_size: 0
    .sgpr_count:     14
    .sgpr_spill_count: 0
    .symbol:         _Z20warp_exchange_kernelILj5ELj32EN6common18StripedToBlockedOpEdEvPT2_S3_b.kd
    .uniform_work_group_size: 1
    .uses_dynamic_stack: false
    .vgpr_count:     15
    .vgpr_spill_count: 0
    .wavefront_size: 64
  - .agpr_count:     0
    .args:
      - .address_space:  global
        .offset:         0
        .size:           8
        .value_kind:     global_buffer
      - .address_space:  global
        .offset:         8
        .size:           8
        .value_kind:     global_buffer
      - .offset:         16
        .size:           1
        .value_kind:     by_value
    .group_segment_fixed_size: 2048
    .kernarg_segment_align: 8
    .kernarg_segment_size: 20
    .language:       OpenCL C
    .language_version:
      - 2
      - 0
    .max_flat_workgroup_size: 1024
    .name:           _Z20warp_exchange_kernelILj4ELj32EN6common18StripedToBlockedOpEfEvPT2_S3_b
    .private_segment_fixed_size: 0
    .sgpr_count:     14
    .sgpr_spill_count: 0
    .symbol:         _Z20warp_exchange_kernelILj4ELj32EN6common18StripedToBlockedOpEfEvPT2_S3_b.kd
    .uniform_work_group_size: 1
    .uses_dynamic_stack: false
    .vgpr_count:     9
    .vgpr_spill_count: 0
    .wavefront_size: 64
  - .agpr_count:     0
    .args:
      - .address_space:  global
        .offset:         0
        .size:           8
        .value_kind:     global_buffer
      - .address_space:  global
        .offset:         8
        .size:           8
        .value_kind:     global_buffer
      - .offset:         16
        .size:           1
        .value_kind:     by_value
    .group_segment_fixed_size: 4096
    .kernarg_segment_align: 8
    .kernarg_segment_size: 20
    .language:       OpenCL C
    .language_version:
      - 2
      - 0
    .max_flat_workgroup_size: 1024
    .name:           _Z20warp_exchange_kernelILj4ELj64EN6common18StripedToBlockedOpElEvPT2_S3_b
    .private_segment_fixed_size: 0
    .sgpr_count:     14
    .sgpr_spill_count: 0
    .symbol:         _Z20warp_exchange_kernelILj4ELj64EN6common18StripedToBlockedOpElEvPT2_S3_b.kd
    .uniform_work_group_size: 1
    .uses_dynamic_stack: false
    .vgpr_count:     13
    .vgpr_spill_count: 0
    .wavefront_size: 64
  - .agpr_count:     0
    .args:
      - .address_space:  global
        .offset:         0
        .size:           8
        .value_kind:     global_buffer
      - .address_space:  global
        .offset:         8
        .size:           8
        .value_kind:     global_buffer
      - .offset:         16
        .size:           1
        .value_kind:     by_value
    .group_segment_fixed_size: 512
    .kernarg_segment_align: 8
    .kernarg_segment_size: 20
    .language:       OpenCL C
    .language_version:
      - 2
      - 0
    .max_flat_workgroup_size: 1024
    .name:           _Z20warp_exchange_kernelILj2ELj32EN6common18StripedToBlockedOpEsEvPT2_S3_b
    .private_segment_fixed_size: 0
    .sgpr_count:     14
    .sgpr_spill_count: 0
    .symbol:         _Z20warp_exchange_kernelILj2ELj32EN6common18StripedToBlockedOpEsEvPT2_S3_b.kd
    .uniform_work_group_size: 1
    .uses_dynamic_stack: false
    .vgpr_count:     7
    .vgpr_spill_count: 0
    .wavefront_size: 64
  - .agpr_count:     0
    .args:
      - .address_space:  global
        .offset:         0
        .size:           8
        .value_kind:     global_buffer
      - .address_space:  global
        .offset:         8
        .size:           8
        .value_kind:     global_buffer
      - .offset:         16
        .size:           1
        .value_kind:     by_value
    .group_segment_fixed_size: 512
    .kernarg_segment_align: 8
    .kernarg_segment_size: 20
    .language:       OpenCL C
    .language_version:
      - 2
      - 0
    .max_flat_workgroup_size: 1024
    .name:           _Z20warp_exchange_kernelILj4ELj16EN6common18StripedToBlockedOpEaEvPT2_S3_b
    .private_segment_fixed_size: 0
    .sgpr_count:     14
    .sgpr_spill_count: 0
    .symbol:         _Z20warp_exchange_kernelILj4ELj16EN6common18StripedToBlockedOpEaEvPT2_S3_b.kd
    .uniform_work_group_size: 1
    .uses_dynamic_stack: false
    .vgpr_count:     9
    .vgpr_spill_count: 0
    .wavefront_size: 64
  - .agpr_count:     0
    .args:
      - .address_space:  global
        .offset:         0
        .size:           8
        .value_kind:     global_buffer
      - .address_space:  global
        .offset:         8
        .size:           8
        .value_kind:     global_buffer
      - .offset:         16
        .size:           1
        .value_kind:     by_value
    .group_segment_fixed_size: 2048
    .kernarg_segment_align: 8
    .kernarg_segment_size: 20
    .language:       OpenCL C
    .language_version:
      - 2
      - 0
    .max_flat_workgroup_size: 1024
    .name:           _Z20warp_exchange_kernelILj4ELj8EN6common18StripedToBlockedOpEiEvPT2_S3_b
    .private_segment_fixed_size: 0
    .sgpr_count:     14
    .sgpr_spill_count: 0
    .symbol:         _Z20warp_exchange_kernelILj4ELj8EN6common18StripedToBlockedOpEiEvPT2_S3_b.kd
    .uniform_work_group_size: 1
    .uses_dynamic_stack: false
    .vgpr_count:     9
    .vgpr_spill_count: 0
    .wavefront_size: 64
  - .agpr_count:     0
    .args:
      - .address_space:  global
        .offset:         0
        .size:           8
        .value_kind:     global_buffer
      - .address_space:  global
        .offset:         8
        .size:           8
        .value_kind:     global_buffer
      - .offset:         16
        .size:           1
        .value_kind:     by_value
    .group_segment_fixed_size: 0
    .kernarg_segment_align: 8
    .kernarg_segment_size: 20
    .language:       OpenCL C
    .language_version:
      - 2
      - 0
    .max_flat_workgroup_size: 1024
    .name:           _Z20warp_exchange_kernelILj2ELj16EN6common25StripedToBlockedShuffleOpEfEvPT2_S3_b
    .private_segment_fixed_size: 0
    .sgpr_count:     14
    .sgpr_spill_count: 0
    .symbol:         _Z20warp_exchange_kernelILj2ELj16EN6common25StripedToBlockedShuffleOpEfEvPT2_S3_b.kd
    .uniform_work_group_size: 1
    .uses_dynamic_stack: false
    .vgpr_count:     9
    .vgpr_spill_count: 0
    .wavefront_size: 64
  - .agpr_count:     0
    .args:
      - .address_space:  global
        .offset:         0
        .size:           8
        .value_kind:     global_buffer
      - .address_space:  global
        .offset:         8
        .size:           8
        .value_kind:     global_buffer
      - .offset:         16
        .size:           1
        .value_kind:     by_value
    .group_segment_fixed_size: 0
    .kernarg_segment_align: 8
    .kernarg_segment_size: 20
    .language:       OpenCL C
    .language_version:
      - 2
      - 0
    .max_flat_workgroup_size: 1024
    .name:           _Z20warp_exchange_kernelILj64ELj16EN6common25BlockedToStripedShuffleOpE12hip_bfloat16EvPT2_S4_b
    .private_segment_fixed_size: 272
    .sgpr_count:     14
    .sgpr_spill_count: 0
    .symbol:         _Z20warp_exchange_kernelILj64ELj16EN6common25BlockedToStripedShuffleOpE12hip_bfloat16EvPT2_S4_b.kd
    .uniform_work_group_size: 1
    .uses_dynamic_stack: false
    .vgpr_count:     127
    .vgpr_spill_count: 0
    .wavefront_size: 64
  - .agpr_count:     0
    .args:
      - .address_space:  global
        .offset:         0
        .size:           8
        .value_kind:     global_buffer
      - .address_space:  global
        .offset:         8
        .size:           8
        .value_kind:     global_buffer
      - .offset:         16
        .size:           1
        .value_kind:     by_value
    .group_segment_fixed_size: 0
    .kernarg_segment_align: 8
    .kernarg_segment_size: 20
    .language:       OpenCL C
    .language_version:
      - 2
      - 0
    .max_flat_workgroup_size: 1024
    .name:           _Z20warp_exchange_kernelILj64ELj8EN6common25BlockedToStripedShuffleOpElEvPT2_S3_b
    .private_segment_fixed_size: 1568
    .sgpr_count:     14
    .sgpr_spill_count: 0
    .symbol:         _Z20warp_exchange_kernelILj64ELj8EN6common25BlockedToStripedShuffleOpElEvPT2_S3_b.kd
    .uniform_work_group_size: 1
    .uses_dynamic_stack: false
    .vgpr_count:     128
    .vgpr_spill_count: 141
    .wavefront_size: 64
  - .agpr_count:     0
    .args:
      - .address_space:  global
        .offset:         0
        .size:           8
        .value_kind:     global_buffer
      - .address_space:  global
        .offset:         8
        .size:           8
        .value_kind:     global_buffer
      - .offset:         16
        .size:           1
        .value_kind:     by_value
    .group_segment_fixed_size: 0
    .kernarg_segment_align: 8
    .kernarg_segment_size: 20
    .language:       OpenCL C
    .language_version:
      - 2
      - 0
    .max_flat_workgroup_size: 1024
    .name:           _Z20warp_exchange_kernelILj32ELj8EN6common25BlockedToStripedShuffleOpEiEvPT2_S3_b
    .private_segment_fixed_size: 272
    .sgpr_count:     14
    .sgpr_spill_count: 0
    .symbol:         _Z20warp_exchange_kernelILj32ELj8EN6common25BlockedToStripedShuffleOpEiEvPT2_S3_b.kd
    .uniform_work_group_size: 1
    .uses_dynamic_stack: false
    .vgpr_count:     71
    .vgpr_spill_count: 0
    .wavefront_size: 64
  - .agpr_count:     0
    .args:
      - .address_space:  global
        .offset:         0
        .size:           8
        .value_kind:     global_buffer
      - .address_space:  global
        .offset:         8
        .size:           8
        .value_kind:     global_buffer
      - .offset:         16
        .size:           1
        .value_kind:     by_value
    .group_segment_fixed_size: 32768
    .kernarg_segment_align: 8
    .kernarg_segment_size: 20
    .language:       OpenCL C
    .language_version:
      - 2
      - 0
    .max_flat_workgroup_size: 1024
    .name:           _Z20warp_exchange_kernelILj32ELj64EN6common25BlockedToStripedShuffleOpEaEvPT2_S3_b
    .private_segment_fixed_size: 80
    .sgpr_count:     15
    .sgpr_spill_count: 0
    .symbol:         _Z20warp_exchange_kernelILj32ELj64EN6common25BlockedToStripedShuffleOpEaEvPT2_S3_b.kd
    .uniform_work_group_size: 1
    .uses_dynamic_stack: false
    .vgpr_count:     62
    .vgpr_spill_count: 0
    .wavefront_size: 64
  - .agpr_count:     0
    .args:
      - .address_space:  global
        .offset:         0
        .size:           8
        .value_kind:     global_buffer
      - .address_space:  global
        .offset:         8
        .size:           8
        .value_kind:     global_buffer
      - .offset:         16
        .size:           1
        .value_kind:     by_value
    .group_segment_fixed_size: 0
    .kernarg_segment_align: 8
    .kernarg_segment_size: 20
    .language:       OpenCL C
    .language_version:
      - 2
      - 0
    .max_flat_workgroup_size: 1024
    .name:           _Z20warp_exchange_kernelILj8ELj32EN6common25BlockedToStripedShuffleOpEdEvPT2_S3_b
    .private_segment_fixed_size: 0
    .sgpr_count:     30
    .sgpr_spill_count: 0
    .symbol:         _Z20warp_exchange_kernelILj8ELj32EN6common25BlockedToStripedShuffleOpEdEvPT2_S3_b.kd
    .uniform_work_group_size: 1
    .uses_dynamic_stack: false
    .vgpr_count:     56
    .vgpr_spill_count: 0
    .wavefront_size: 64
  - .agpr_count:     0
    .args:
      - .address_space:  global
        .offset:         0
        .size:           8
        .value_kind:     global_buffer
      - .address_space:  global
        .offset:         8
        .size:           8
        .value_kind:     global_buffer
      - .offset:         16
        .size:           1
        .value_kind:     by_value
    .group_segment_fixed_size: 0
    .kernarg_segment_align: 8
    .kernarg_segment_size: 20
    .language:       OpenCL C
    .language_version:
      - 2
      - 0
    .max_flat_workgroup_size: 1024
    .name:           _Z20warp_exchange_kernelILj16ELj64EN6common25BlockedToStripedShuffleOpEfEvPT2_S3_b
    .private_segment_fixed_size: 0
    .sgpr_count:     38
    .sgpr_spill_count: 0
    .symbol:         _Z20warp_exchange_kernelILj16ELj64EN6common25BlockedToStripedShuffleOpEfEvPT2_S3_b.kd
    .uniform_work_group_size: 1
    .uses_dynamic_stack: false
    .vgpr_count:     66
    .vgpr_spill_count: 0
    .wavefront_size: 64
  - .agpr_count:     0
    .args:
      - .address_space:  global
        .offset:         0
        .size:           8
        .value_kind:     global_buffer
      - .address_space:  global
        .offset:         8
        .size:           8
        .value_kind:     global_buffer
      - .offset:         16
        .size:           1
        .value_kind:     by_value
    .group_segment_fixed_size: 32768
    .kernarg_segment_align: 8
    .kernarg_segment_size: 20
    .language:       OpenCL C
    .language_version:
      - 2
      - 0
    .max_flat_workgroup_size: 1024
    .name:           _Z20warp_exchange_kernelILj8ELj8EN6common25BlockedToStripedShuffleOpE12hip_bfloat16EvPT2_S4_b
    .private_segment_fixed_size: 0
    .sgpr_count:     15
    .sgpr_spill_count: 0
    .symbol:         _Z20warp_exchange_kernelILj8ELj8EN6common25BlockedToStripedShuffleOpE12hip_bfloat16EvPT2_S4_b.kd
    .uniform_work_group_size: 1
    .uses_dynamic_stack: false
    .vgpr_count:     20
    .vgpr_spill_count: 0
    .wavefront_size: 64
  - .agpr_count:     0
    .args:
      - .address_space:  global
        .offset:         0
        .size:           8
        .value_kind:     global_buffer
      - .address_space:  global
        .offset:         8
        .size:           8
        .value_kind:     global_buffer
      - .offset:         16
        .size:           1
        .value_kind:     by_value
    .group_segment_fixed_size: 0
    .kernarg_segment_align: 8
    .kernarg_segment_size: 20
    .language:       OpenCL C
    .language_version:
      - 2
      - 0
    .max_flat_workgroup_size: 1024
    .name:           _Z20warp_exchange_kernelILj64ELj64EN6common25BlockedToStripedShuffleOpEdEvPT2_S3_b
    .private_segment_fixed_size: 1056
    .sgpr_count:     14
    .sgpr_spill_count: 0
    .symbol:         _Z20warp_exchange_kernelILj64ELj64EN6common25BlockedToStripedShuffleOpEdEvPT2_S3_b.kd
    .uniform_work_group_size: 1
    .uses_dynamic_stack: false
    .vgpr_count:     128
    .vgpr_spill_count: 141
    .wavefront_size: 64
  - .agpr_count:     0
    .args:
      - .address_space:  global
        .offset:         0
        .size:           8
        .value_kind:     global_buffer
      - .address_space:  global
        .offset:         8
        .size:           8
        .value_kind:     global_buffer
      - .offset:         16
        .size:           1
        .value_kind:     by_value
    .group_segment_fixed_size: 0
    .kernarg_segment_align: 8
    .kernarg_segment_size: 20
    .language:       OpenCL C
    .language_version:
      - 2
      - 0
    .max_flat_workgroup_size: 1024
    .name:           _Z20warp_exchange_kernelILj32ELj32EN6common25BlockedToStripedShuffleOpEfEvPT2_S3_b
    .private_segment_fixed_size: 144
    .sgpr_count:     14
    .sgpr_spill_count: 0
    .symbol:         _Z20warp_exchange_kernelILj32ELj32EN6common25BlockedToStripedShuffleOpEfEvPT2_S3_b.kd
    .uniform_work_group_size: 1
    .uses_dynamic_stack: false
    .vgpr_count:     76
    .vgpr_spill_count: 0
    .wavefront_size: 64
  - .agpr_count:     0
    .args:
      - .address_space:  global
        .offset:         0
        .size:           8
        .value_kind:     global_buffer
      - .address_space:  global
        .offset:         8
        .size:           8
        .value_kind:     global_buffer
      - .offset:         16
        .size:           1
        .value_kind:     by_value
    .group_segment_fixed_size: 0
    .kernarg_segment_align: 8
    .kernarg_segment_size: 20
    .language:       OpenCL C
    .language_version:
      - 2
      - 0
    .max_flat_workgroup_size: 1024
    .name:           _Z20warp_exchange_kernelILj8ELj8EN6common25BlockedToStripedShuffleOpElEvPT2_S3_b
    .private_segment_fixed_size: 80
    .sgpr_count:     14
    .sgpr_spill_count: 0
    .symbol:         _Z20warp_exchange_kernelILj8ELj8EN6common25BlockedToStripedShuffleOpElEvPT2_S3_b.kd
    .uniform_work_group_size: 1
    .uses_dynamic_stack: false
    .vgpr_count:     39
    .vgpr_spill_count: 0
    .wavefront_size: 64
  - .agpr_count:     0
    .args:
      - .address_space:  global
        .offset:         0
        .size:           8
        .value_kind:     global_buffer
      - .address_space:  global
        .offset:         8
        .size:           8
        .value_kind:     global_buffer
      - .offset:         16
        .size:           1
        .value_kind:     by_value
    .group_segment_fixed_size: 0
    .kernarg_segment_align: 8
    .kernarg_segment_size: 20
    .language:       OpenCL C
    .language_version:
      - 2
      - 0
    .max_flat_workgroup_size: 1024
    .name:           _Z20warp_exchange_kernelILj32ELj32EN6common25BlockedToStripedShuffleOpEsEvPT2_S3_b
    .private_segment_fixed_size: 80
    .sgpr_count:     14
    .sgpr_spill_count: 0
    .symbol:         _Z20warp_exchange_kernelILj32ELj32EN6common25BlockedToStripedShuffleOpEsEvPT2_S3_b.kd
    .uniform_work_group_size: 1
    .uses_dynamic_stack: false
    .vgpr_count:     47
    .vgpr_spill_count: 0
    .wavefront_size: 64
  - .agpr_count:     0
    .args:
      - .address_space:  global
        .offset:         0
        .size:           8
        .value_kind:     global_buffer
      - .address_space:  global
        .offset:         8
        .size:           8
        .value_kind:     global_buffer
      - .offset:         16
        .size:           1
        .value_kind:     by_value
    .group_segment_fixed_size: 0
    .kernarg_segment_align: 8
    .kernarg_segment_size: 20
    .language:       OpenCL C
    .language_version:
      - 2
      - 0
    .max_flat_workgroup_size: 1024
    .name:           _Z20warp_exchange_kernelILj16ELj16EN6common25BlockedToStripedShuffleOpEaEvPT2_S3_b
    .private_segment_fixed_size: 0
    .sgpr_count:     106
    .sgpr_spill_count: 166
    .symbol:         _Z20warp_exchange_kernelILj16ELj16EN6common25BlockedToStripedShuffleOpEaEvPT2_S3_b.kd
    .uniform_work_group_size: 1
    .uses_dynamic_stack: false
    .vgpr_count:     44
    .vgpr_spill_count: 0
    .wavefront_size: 64
  - .agpr_count:     0
    .args:
      - .address_space:  global
        .offset:         0
        .size:           8
        .value_kind:     global_buffer
      - .address_space:  global
        .offset:         8
        .size:           8
        .value_kind:     global_buffer
      - .offset:         16
        .size:           1
        .value_kind:     by_value
    .group_segment_fixed_size: 32768
    .kernarg_segment_align: 8
    .kernarg_segment_size: 20
    .language:       OpenCL C
    .language_version:
      - 2
      - 0
    .max_flat_workgroup_size: 1024
    .name:           _Z20warp_exchange_kernelILj8ELj8EN6common25BlockedToStripedShuffleOpEiEvPT2_S3_b
    .private_segment_fixed_size: 48
    .sgpr_count:     15
    .sgpr_spill_count: 0
    .symbol:         _Z20warp_exchange_kernelILj8ELj8EN6common25BlockedToStripedShuffleOpEiEvPT2_S3_b.kd
    .uniform_work_group_size: 1
    .uses_dynamic_stack: false
    .vgpr_count:     24
    .vgpr_spill_count: 0
    .wavefront_size: 64
  - .agpr_count:     0
    .args:
      - .address_space:  global
        .offset:         0
        .size:           8
        .value_kind:     global_buffer
      - .address_space:  global
        .offset:         8
        .size:           8
        .value_kind:     global_buffer
      - .offset:         16
        .size:           1
        .value_kind:     by_value
    .group_segment_fixed_size: 32768
    .kernarg_segment_align: 8
    .kernarg_segment_size: 20
    .language:       OpenCL C
    .language_version:
      - 2
      - 0
    .max_flat_workgroup_size: 1024
    .name:           _Z20warp_exchange_kernelILj4ELj8EN6common25BlockedToStripedShuffleOpE12hip_bfloat16EvPT2_S4_b
    .private_segment_fixed_size: 0
    .sgpr_count:     15
    .sgpr_spill_count: 0
    .symbol:         _Z20warp_exchange_kernelILj4ELj8EN6common25BlockedToStripedShuffleOpE12hip_bfloat16EvPT2_S4_b.kd
    .uniform_work_group_size: 1
    .uses_dynamic_stack: false
    .vgpr_count:     19
    .vgpr_spill_count: 0
    .wavefront_size: 64
  - .agpr_count:     0
    .args:
      - .address_space:  global
        .offset:         0
        .size:           8
        .value_kind:     global_buffer
      - .address_space:  global
        .offset:         8
        .size:           8
        .value_kind:     global_buffer
      - .offset:         16
        .size:           1
        .value_kind:     by_value
    .group_segment_fixed_size: 0
    .kernarg_segment_align: 8
    .kernarg_segment_size: 20
    .language:       OpenCL C
    .language_version:
      - 2
      - 0
    .max_flat_workgroup_size: 1024
    .name:           _Z20warp_exchange_kernelILj4ELj64EN6common25BlockedToStripedShuffleOpEdEvPT2_S3_b
    .private_segment_fixed_size: 0
    .sgpr_count:     14
    .sgpr_spill_count: 0
    .symbol:         _Z20warp_exchange_kernelILj4ELj64EN6common25BlockedToStripedShuffleOpEdEvPT2_S3_b.kd
    .uniform_work_group_size: 1
    .uses_dynamic_stack: false
    .vgpr_count:     26
    .vgpr_spill_count: 0
    .wavefront_size: 64
  - .agpr_count:     0
    .args:
      - .address_space:  global
        .offset:         0
        .size:           8
        .value_kind:     global_buffer
      - .address_space:  global
        .offset:         8
        .size:           8
        .value_kind:     global_buffer
      - .offset:         16
        .size:           1
        .value_kind:     by_value
    .group_segment_fixed_size: 0
    .kernarg_segment_align: 8
    .kernarg_segment_size: 20
    .language:       OpenCL C
    .language_version:
      - 2
      - 0
    .max_flat_workgroup_size: 1024
    .name:           _Z20warp_exchange_kernelILj4ELj32EN6common25BlockedToStripedShuffleOpEfEvPT2_S3_b
    .private_segment_fixed_size: 0
    .sgpr_count:     15
    .sgpr_spill_count: 0
    .symbol:         _Z20warp_exchange_kernelILj4ELj32EN6common25BlockedToStripedShuffleOpEfEvPT2_S3_b.kd
    .uniform_work_group_size: 1
    .uses_dynamic_stack: false
    .vgpr_count:     16
    .vgpr_spill_count: 0
    .wavefront_size: 64
  - .agpr_count:     0
    .args:
      - .address_space:  global
        .offset:         0
        .size:           8
        .value_kind:     global_buffer
      - .address_space:  global
        .offset:         8
        .size:           8
        .value_kind:     global_buffer
      - .offset:         16
        .size:           1
        .value_kind:     by_value
    .group_segment_fixed_size: 0
    .kernarg_segment_align: 8
    .kernarg_segment_size: 20
    .language:       OpenCL C
    .language_version:
      - 2
      - 0
    .max_flat_workgroup_size: 1024
    .name:           _Z20warp_exchange_kernelILj4ELj8EN6common25BlockedToStripedShuffleOpElEvPT2_S3_b
    .private_segment_fixed_size: 0
    .sgpr_count:     18
    .sgpr_spill_count: 0
    .symbol:         _Z20warp_exchange_kernelILj4ELj8EN6common25BlockedToStripedShuffleOpElEvPT2_S3_b.kd
    .uniform_work_group_size: 1
    .uses_dynamic_stack: false
    .vgpr_count:     25
    .vgpr_spill_count: 0
    .wavefront_size: 64
  - .agpr_count:     0
    .args:
      - .address_space:  global
        .offset:         0
        .size:           8
        .value_kind:     global_buffer
      - .address_space:  global
        .offset:         8
        .size:           8
        .value_kind:     global_buffer
      - .offset:         16
        .size:           1
        .value_kind:     by_value
    .group_segment_fixed_size: 0
    .kernarg_segment_align: 8
    .kernarg_segment_size: 20
    .language:       OpenCL C
    .language_version:
      - 2
      - 0
    .max_flat_workgroup_size: 1024
    .name:           _Z20warp_exchange_kernelILj2ELj32EN6common25BlockedToStripedShuffleOpEsEvPT2_S3_b
    .private_segment_fixed_size: 0
    .sgpr_count:     14
    .sgpr_spill_count: 0
    .symbol:         _Z20warp_exchange_kernelILj2ELj32EN6common25BlockedToStripedShuffleOpEsEvPT2_S3_b.kd
    .uniform_work_group_size: 1
    .uses_dynamic_stack: false
    .vgpr_count:     9
    .vgpr_spill_count: 0
    .wavefront_size: 64
  - .agpr_count:     0
    .args:
      - .address_space:  global
        .offset:         0
        .size:           8
        .value_kind:     global_buffer
      - .address_space:  global
        .offset:         8
        .size:           8
        .value_kind:     global_buffer
      - .offset:         16
        .size:           1
        .value_kind:     by_value
    .group_segment_fixed_size: 0
    .kernarg_segment_align: 8
    .kernarg_segment_size: 20
    .language:       OpenCL C
    .language_version:
      - 2
      - 0
    .max_flat_workgroup_size: 1024
    .name:           _Z20warp_exchange_kernelILj4ELj16EN6common25BlockedToStripedShuffleOpEaEvPT2_S3_b
    .private_segment_fixed_size: 0
    .sgpr_count:     14
    .sgpr_spill_count: 0
    .symbol:         _Z20warp_exchange_kernelILj4ELj16EN6common25BlockedToStripedShuffleOpEaEvPT2_S3_b.kd
    .uniform_work_group_size: 1
    .uses_dynamic_stack: false
    .vgpr_count:     24
    .vgpr_spill_count: 0
    .wavefront_size: 64
  - .agpr_count:     0
    .args:
      - .address_space:  global
        .offset:         0
        .size:           8
        .value_kind:     global_buffer
      - .address_space:  global
        .offset:         8
        .size:           8
        .value_kind:     global_buffer
      - .offset:         16
        .size:           1
        .value_kind:     by_value
    .group_segment_fixed_size: 0
    .kernarg_segment_align: 8
    .kernarg_segment_size: 20
    .language:       OpenCL C
    .language_version:
      - 2
      - 0
    .max_flat_workgroup_size: 1024
    .name:           _Z20warp_exchange_kernelILj4ELj8EN6common25BlockedToStripedShuffleOpEiEvPT2_S3_b
    .private_segment_fixed_size: 0
    .sgpr_count:     50
    .sgpr_spill_count: 0
    .symbol:         _Z20warp_exchange_kernelILj4ELj8EN6common25BlockedToStripedShuffleOpEiEvPT2_S3_b.kd
    .uniform_work_group_size: 1
    .uses_dynamic_stack: false
    .vgpr_count:     15
    .vgpr_spill_count: 0
    .wavefront_size: 64
  - .agpr_count:     0
    .args:
      - .address_space:  global
        .offset:         0
        .size:           8
        .value_kind:     global_buffer
      - .address_space:  global
        .offset:         8
        .size:           8
        .value_kind:     global_buffer
      - .offset:         16
        .size:           1
        .value_kind:     by_value
    .group_segment_fixed_size: 1024
    .kernarg_segment_align: 8
    .kernarg_segment_size: 20
    .language:       OpenCL C
    .language_version:
      - 2
      - 0
    .max_flat_workgroup_size: 1024
    .name:           _Z20warp_exchange_kernelILj4ELj8EN6common18BlockedToStripedOpE12hip_bfloat16EvPT2_S4_b
    .private_segment_fixed_size: 0
    .sgpr_count:     14
    .sgpr_spill_count: 0
    .symbol:         _Z20warp_exchange_kernelILj4ELj8EN6common18BlockedToStripedOpE12hip_bfloat16EvPT2_S4_b.kd
    .uniform_work_group_size: 1
    .uses_dynamic_stack: false
    .vgpr_count:     8
    .vgpr_spill_count: 0
    .wavefront_size: 64
  - .agpr_count:     0
    .args:
      - .address_space:  global
        .offset:         0
        .size:           8
        .value_kind:     global_buffer
      - .address_space:  global
        .offset:         8
        .size:           8
        .value_kind:     global_buffer
      - .offset:         16
        .size:           1
        .value_kind:     by_value
    .group_segment_fixed_size: 5120
    .kernarg_segment_align: 8
    .kernarg_segment_size: 20
    .language:       OpenCL C
    .language_version:
      - 2
      - 0
    .max_flat_workgroup_size: 1024
    .name:           _Z20warp_exchange_kernelILj5ELj32EN6common18BlockedToStripedOpEdEvPT2_S3_b
    .private_segment_fixed_size: 0
    .sgpr_count:     14
    .sgpr_spill_count: 0
    .symbol:         _Z20warp_exchange_kernelILj5ELj32EN6common18BlockedToStripedOpEdEvPT2_S3_b.kd
    .uniform_work_group_size: 1
    .uses_dynamic_stack: false
    .vgpr_count:     16
    .vgpr_spill_count: 0
    .wavefront_size: 64
  - .agpr_count:     0
    .args:
      - .address_space:  global
        .offset:         0
        .size:           8
        .value_kind:     global_buffer
      - .address_space:  global
        .offset:         8
        .size:           8
        .value_kind:     global_buffer
      - .offset:         16
        .size:           1
        .value_kind:     by_value
    .group_segment_fixed_size: 2048
    .kernarg_segment_align: 8
    .kernarg_segment_size: 20
    .language:       OpenCL C
    .language_version:
      - 2
      - 0
    .max_flat_workgroup_size: 1024
    .name:           _Z20warp_exchange_kernelILj4ELj32EN6common18BlockedToStripedOpEfEvPT2_S3_b
    .private_segment_fixed_size: 0
    .sgpr_count:     14
    .sgpr_spill_count: 0
    .symbol:         _Z20warp_exchange_kernelILj4ELj32EN6common18BlockedToStripedOpEfEvPT2_S3_b.kd
    .uniform_work_group_size: 1
    .uses_dynamic_stack: false
    .vgpr_count:     10
    .vgpr_spill_count: 0
    .wavefront_size: 64
  - .agpr_count:     0
    .args:
      - .address_space:  global
        .offset:         0
        .size:           8
        .value_kind:     global_buffer
      - .address_space:  global
        .offset:         8
        .size:           8
        .value_kind:     global_buffer
      - .offset:         16
        .size:           1
        .value_kind:     by_value
    .group_segment_fixed_size: 4096
    .kernarg_segment_align: 8
    .kernarg_segment_size: 20
    .language:       OpenCL C
    .language_version:
      - 2
      - 0
    .max_flat_workgroup_size: 1024
    .name:           _Z20warp_exchange_kernelILj4ELj64EN6common18BlockedToStripedOpElEvPT2_S3_b
    .private_segment_fixed_size: 0
    .sgpr_count:     14
    .sgpr_spill_count: 0
    .symbol:         _Z20warp_exchange_kernelILj4ELj64EN6common18BlockedToStripedOpElEvPT2_S3_b.kd
    .uniform_work_group_size: 1
    .uses_dynamic_stack: false
    .vgpr_count:     14
    .vgpr_spill_count: 0
    .wavefront_size: 64
  - .agpr_count:     0
    .args:
      - .address_space:  global
        .offset:         0
        .size:           8
        .value_kind:     global_buffer
      - .address_space:  global
        .offset:         8
        .size:           8
        .value_kind:     global_buffer
      - .offset:         16
        .size:           1
        .value_kind:     by_value
    .group_segment_fixed_size: 512
    .kernarg_segment_align: 8
    .kernarg_segment_size: 20
    .language:       OpenCL C
    .language_version:
      - 2
      - 0
    .max_flat_workgroup_size: 1024
    .name:           _Z20warp_exchange_kernelILj2ELj32EN6common18BlockedToStripedOpEsEvPT2_S3_b
    .private_segment_fixed_size: 0
    .sgpr_count:     14
    .sgpr_spill_count: 0
    .symbol:         _Z20warp_exchange_kernelILj2ELj32EN6common18BlockedToStripedOpEsEvPT2_S3_b.kd
    .uniform_work_group_size: 1
    .uses_dynamic_stack: false
    .vgpr_count:     7
    .vgpr_spill_count: 0
    .wavefront_size: 64
  - .agpr_count:     0
    .args:
      - .address_space:  global
        .offset:         0
        .size:           8
        .value_kind:     global_buffer
      - .address_space:  global
        .offset:         8
        .size:           8
        .value_kind:     global_buffer
      - .offset:         16
        .size:           1
        .value_kind:     by_value
    .group_segment_fixed_size: 512
    .kernarg_segment_align: 8
    .kernarg_segment_size: 20
    .language:       OpenCL C
    .language_version:
      - 2
      - 0
    .max_flat_workgroup_size: 1024
    .name:           _Z20warp_exchange_kernelILj4ELj16EN6common18BlockedToStripedOpEaEvPT2_S3_b
    .private_segment_fixed_size: 0
    .sgpr_count:     14
    .sgpr_spill_count: 0
    .symbol:         _Z20warp_exchange_kernelILj4ELj16EN6common18BlockedToStripedOpEaEvPT2_S3_b.kd
    .uniform_work_group_size: 1
    .uses_dynamic_stack: false
    .vgpr_count:     8
    .vgpr_spill_count: 0
    .wavefront_size: 64
  - .agpr_count:     0
    .args:
      - .address_space:  global
        .offset:         0
        .size:           8
        .value_kind:     global_buffer
      - .address_space:  global
        .offset:         8
        .size:           8
        .value_kind:     global_buffer
      - .offset:         16
        .size:           1
        .value_kind:     by_value
    .group_segment_fixed_size: 2048
    .kernarg_segment_align: 8
    .kernarg_segment_size: 20
    .language:       OpenCL C
    .language_version:
      - 2
      - 0
    .max_flat_workgroup_size: 1024
    .name:           _Z20warp_exchange_kernelILj4ELj8EN6common18BlockedToStripedOpEiEvPT2_S3_b
    .private_segment_fixed_size: 0
    .sgpr_count:     14
    .sgpr_spill_count: 0
    .symbol:         _Z20warp_exchange_kernelILj4ELj8EN6common18BlockedToStripedOpEiEvPT2_S3_b.kd
    .uniform_work_group_size: 1
    .uses_dynamic_stack: false
    .vgpr_count:     10
    .vgpr_spill_count: 0
    .wavefront_size: 64
  - .agpr_count:     0
    .args:
      - .address_space:  global
        .offset:         0
        .size:           8
        .value_kind:     global_buffer
      - .address_space:  global
        .offset:         8
        .size:           8
        .value_kind:     global_buffer
      - .address_space:  global
        .offset:         16
        .size:           8
        .value_kind:     global_buffer
    .group_segment_fixed_size: 1024
    .kernarg_segment_align: 8
    .kernarg_segment_size: 24
    .language:       OpenCL C
    .language_version:
      - 2
      - 0
    .max_flat_workgroup_size: 1024
    .name:           _Z28warp_exchange_scatter_kernelILj4ELj64EitEvPT1_S1_PT2_
    .private_segment_fixed_size: 0
    .sgpr_count:     10
    .sgpr_spill_count: 0
    .symbol:         _Z28warp_exchange_scatter_kernelILj4ELj64EitEvPT1_S1_PT2_.kd
    .uniform_work_group_size: 1
    .uses_dynamic_stack: false
    .vgpr_count:     11
    .vgpr_spill_count: 0
    .wavefront_size: 64
  - .agpr_count:     0
    .args:
      - .address_space:  global
        .offset:         0
        .size:           8
        .value_kind:     global_buffer
      - .address_space:  global
        .offset:         8
        .size:           8
        .value_kind:     global_buffer
      - .address_space:  global
        .offset:         16
        .size:           8
        .value_kind:     global_buffer
    .group_segment_fixed_size: 1280
    .kernarg_segment_align: 8
    .kernarg_segment_size: 24
    .language:       OpenCL C
    .language_version:
      - 2
      - 0
    .max_flat_workgroup_size: 1024
    .name:           _Z28warp_exchange_scatter_kernelILj5ELj32EitEvPT1_S1_PT2_
    .private_segment_fixed_size: 0
    .sgpr_count:     10
    .sgpr_spill_count: 0
    .symbol:         _Z28warp_exchange_scatter_kernelILj5ELj32EitEvPT1_S1_PT2_.kd
    .uniform_work_group_size: 1
    .uses_dynamic_stack: false
    .vgpr_count:     14
    .vgpr_spill_count: 0
    .wavefront_size: 64
  - .agpr_count:     0
    .args:
      - .address_space:  global
        .offset:         0
        .size:           8
        .value_kind:     global_buffer
      - .address_space:  global
        .offset:         8
        .size:           8
        .value_kind:     global_buffer
      - .address_space:  global
        .offset:         16
        .size:           8
        .value_kind:     global_buffer
    .group_segment_fixed_size: 2048
    .kernarg_segment_align: 8
    .kernarg_segment_size: 24
    .language:       OpenCL C
    .language_version:
      - 2
      - 0
    .max_flat_workgroup_size: 1024
    .name:           _Z28warp_exchange_scatter_kernelILj4ELj32EltEvPT1_S1_PT2_
    .private_segment_fixed_size: 0
    .sgpr_count:     10
    .sgpr_spill_count: 0
    .symbol:         _Z28warp_exchange_scatter_kernelILj4ELj32EltEvPT1_S1_PT2_.kd
    .uniform_work_group_size: 1
    .uses_dynamic_stack: false
    .vgpr_count:     15
    .vgpr_spill_count: 0
    .wavefront_size: 64
  - .agpr_count:     0
    .args:
      - .address_space:  global
        .offset:         0
        .size:           8
        .value_kind:     global_buffer
      - .address_space:  global
        .offset:         8
        .size:           8
        .value_kind:     global_buffer
      - .address_space:  global
        .offset:         16
        .size:           8
        .value_kind:     global_buffer
    .group_segment_fixed_size: 512
    .kernarg_segment_align: 8
    .kernarg_segment_size: 24
    .language:       OpenCL C
    .language_version:
      - 2
      - 0
    .max_flat_workgroup_size: 1024
    .name:           _Z28warp_exchange_scatter_kernelILj2ELj32EitEvPT1_S1_PT2_
    .private_segment_fixed_size: 0
    .sgpr_count:     14
    .sgpr_spill_count: 0
    .symbol:         _Z28warp_exchange_scatter_kernelILj2ELj32EitEvPT1_S1_PT2_.kd
    .uniform_work_group_size: 1
    .uses_dynamic_stack: false
    .vgpr_count:     7
    .vgpr_spill_count: 0
    .wavefront_size: 64
  - .agpr_count:     0
    .args:
      - .address_space:  global
        .offset:         0
        .size:           8
        .value_kind:     global_buffer
      - .address_space:  global
        .offset:         8
        .size:           8
        .value_kind:     global_buffer
      - .address_space:  global
        .offset:         16
        .size:           8
        .value_kind:     global_buffer
    .group_segment_fixed_size: 512
    .kernarg_segment_align: 8
    .kernarg_segment_size: 24
    .language:       OpenCL C
    .language_version:
      - 2
      - 0
    .max_flat_workgroup_size: 1024
    .name:           _Z28warp_exchange_scatter_kernelILj4ELj16EstEvPT1_S1_PT2_
    .private_segment_fixed_size: 0
    .sgpr_count:     10
    .sgpr_spill_count: 0
    .symbol:         _Z28warp_exchange_scatter_kernelILj4ELj16EstEvPT1_S1_PT2_.kd
    .uniform_work_group_size: 1
    .uses_dynamic_stack: false
    .vgpr_count:     9
    .vgpr_spill_count: 0
    .wavefront_size: 64
  - .agpr_count:     0
    .args:
      - .address_space:  global
        .offset:         0
        .size:           8
        .value_kind:     global_buffer
      - .address_space:  global
        .offset:         8
        .size:           8
        .value_kind:     global_buffer
      - .address_space:  global
        .offset:         16
        .size:           8
        .value_kind:     global_buffer
    .group_segment_fixed_size: 1024
    .kernarg_segment_align: 8
    .kernarg_segment_size: 24
    .language:       OpenCL C
    .language_version:
      - 2
      - 0
    .max_flat_workgroup_size: 1024
    .name:           _Z28warp_exchange_scatter_kernelILj4ELj8EitEvPT1_S1_PT2_
    .private_segment_fixed_size: 0
    .sgpr_count:     10
    .sgpr_spill_count: 0
    .symbol:         _Z28warp_exchange_scatter_kernelILj4ELj8EitEvPT1_S1_PT2_.kd
    .uniform_work_group_size: 1
    .uses_dynamic_stack: false
    .vgpr_count:     11
    .vgpr_spill_count: 0
    .wavefront_size: 64
amdhsa.target:   amdgcn-amd-amdhsa--gfx942
amdhsa.version:
  - 1
  - 2
...

	.end_amdgpu_metadata
